;; amdgpu-corpus repo=ROCm/rocFFT kind=compiled arch=gfx1030 opt=O3
	.text
	.amdgcn_target "amdgcn-amd-amdhsa--gfx1030"
	.amdhsa_code_object_version 6
	.protected	fft_rtc_back_len480_factors_10_8_6_wgs_64_tpt_16_halfLds_dp_ip_CI_unitstride_sbrr_C2R_dirReg ; -- Begin function fft_rtc_back_len480_factors_10_8_6_wgs_64_tpt_16_halfLds_dp_ip_CI_unitstride_sbrr_C2R_dirReg
	.globl	fft_rtc_back_len480_factors_10_8_6_wgs_64_tpt_16_halfLds_dp_ip_CI_unitstride_sbrr_C2R_dirReg
	.p2align	8
	.type	fft_rtc_back_len480_factors_10_8_6_wgs_64_tpt_16_halfLds_dp_ip_CI_unitstride_sbrr_C2R_dirReg,@function
fft_rtc_back_len480_factors_10_8_6_wgs_64_tpt_16_halfLds_dp_ip_CI_unitstride_sbrr_C2R_dirReg: ; @fft_rtc_back_len480_factors_10_8_6_wgs_64_tpt_16_halfLds_dp_ip_CI_unitstride_sbrr_C2R_dirReg
; %bb.0:
	s_clause 0x2
	s_load_dwordx4 s[8:11], s[4:5], 0x0
	s_load_dwordx2 s[2:3], s[4:5], 0x50
	s_load_dwordx2 s[12:13], s[4:5], 0x18
	v_lshrrev_b32_e32 v9, 4, v0
	v_mov_b32_e32 v3, 0
	v_mov_b32_e32 v1, 0
	;; [unrolled: 1-line block ×3, first 2 shown]
	v_lshl_or_b32 v5, s6, 2, v9
	v_mov_b32_e32 v6, v3
	s_waitcnt lgkmcnt(0)
	v_cmp_lt_u64_e64 s0, s[10:11], 2
	s_and_b32 vcc_lo, exec_lo, s0
	s_cbranch_vccnz .LBB0_8
; %bb.1:
	s_load_dwordx2 s[0:1], s[4:5], 0x10
	v_mov_b32_e32 v1, 0
	s_add_u32 s6, s12, 8
	v_mov_b32_e32 v2, 0
	s_addc_u32 s7, s13, 0
	s_mov_b64 s[16:17], 1
	s_waitcnt lgkmcnt(0)
	s_add_u32 s14, s0, 8
	s_addc_u32 s15, s1, 0
.LBB0_2:                                ; =>This Inner Loop Header: Depth=1
	s_load_dwordx2 s[18:19], s[14:15], 0x0
                                        ; implicit-def: $vgpr7_vgpr8
	s_mov_b32 s0, exec_lo
	s_waitcnt lgkmcnt(0)
	v_or_b32_e32 v4, s19, v6
	v_cmpx_ne_u64_e32 0, v[3:4]
	s_xor_b32 s1, exec_lo, s0
	s_cbranch_execz .LBB0_4
; %bb.3:                                ;   in Loop: Header=BB0_2 Depth=1
	v_cvt_f32_u32_e32 v4, s18
	v_cvt_f32_u32_e32 v7, s19
	s_sub_u32 s0, 0, s18
	s_subb_u32 s20, 0, s19
	v_fmac_f32_e32 v4, 0x4f800000, v7
	v_rcp_f32_e32 v4, v4
	v_mul_f32_e32 v4, 0x5f7ffffc, v4
	v_mul_f32_e32 v7, 0x2f800000, v4
	v_trunc_f32_e32 v7, v7
	v_fmac_f32_e32 v4, 0xcf800000, v7
	v_cvt_u32_f32_e32 v7, v7
	v_cvt_u32_f32_e32 v4, v4
	v_mul_lo_u32 v8, s0, v7
	v_mul_hi_u32 v10, s0, v4
	v_mul_lo_u32 v11, s20, v4
	v_add_nc_u32_e32 v8, v10, v8
	v_mul_lo_u32 v10, s0, v4
	v_add_nc_u32_e32 v8, v8, v11
	v_mul_hi_u32 v11, v4, v10
	v_mul_lo_u32 v12, v4, v8
	v_mul_hi_u32 v13, v4, v8
	v_mul_hi_u32 v14, v7, v10
	v_mul_lo_u32 v10, v7, v10
	v_mul_hi_u32 v15, v7, v8
	v_mul_lo_u32 v8, v7, v8
	v_add_co_u32 v11, vcc_lo, v11, v12
	v_add_co_ci_u32_e32 v12, vcc_lo, 0, v13, vcc_lo
	v_add_co_u32 v10, vcc_lo, v11, v10
	v_add_co_ci_u32_e32 v10, vcc_lo, v12, v14, vcc_lo
	v_add_co_ci_u32_e32 v11, vcc_lo, 0, v15, vcc_lo
	v_add_co_u32 v8, vcc_lo, v10, v8
	v_add_co_ci_u32_e32 v10, vcc_lo, 0, v11, vcc_lo
	v_add_co_u32 v4, vcc_lo, v4, v8
	v_add_co_ci_u32_e32 v7, vcc_lo, v7, v10, vcc_lo
	v_mul_hi_u32 v8, s0, v4
	v_mul_lo_u32 v11, s20, v4
	v_mul_lo_u32 v10, s0, v7
	v_add_nc_u32_e32 v8, v8, v10
	v_mul_lo_u32 v10, s0, v4
	v_add_nc_u32_e32 v8, v8, v11
	v_mul_hi_u32 v11, v4, v10
	v_mul_lo_u32 v12, v4, v8
	v_mul_hi_u32 v13, v4, v8
	v_mul_hi_u32 v14, v7, v10
	v_mul_lo_u32 v10, v7, v10
	v_mul_hi_u32 v15, v7, v8
	v_mul_lo_u32 v8, v7, v8
	v_add_co_u32 v11, vcc_lo, v11, v12
	v_add_co_ci_u32_e32 v12, vcc_lo, 0, v13, vcc_lo
	v_add_co_u32 v10, vcc_lo, v11, v10
	v_add_co_ci_u32_e32 v10, vcc_lo, v12, v14, vcc_lo
	v_add_co_ci_u32_e32 v11, vcc_lo, 0, v15, vcc_lo
	v_add_co_u32 v8, vcc_lo, v10, v8
	v_add_co_ci_u32_e32 v10, vcc_lo, 0, v11, vcc_lo
	v_add_co_u32 v4, vcc_lo, v4, v8
	v_add_co_ci_u32_e32 v12, vcc_lo, v7, v10, vcc_lo
	v_mul_hi_u32 v14, v5, v4
	v_mad_u64_u32 v[10:11], null, v6, v4, 0
	v_mad_u64_u32 v[7:8], null, v5, v12, 0
	;; [unrolled: 1-line block ×3, first 2 shown]
	v_add_co_u32 v4, vcc_lo, v14, v7
	v_add_co_ci_u32_e32 v7, vcc_lo, 0, v8, vcc_lo
	v_add_co_u32 v4, vcc_lo, v4, v10
	v_add_co_ci_u32_e32 v4, vcc_lo, v7, v11, vcc_lo
	v_add_co_ci_u32_e32 v7, vcc_lo, 0, v13, vcc_lo
	v_add_co_u32 v4, vcc_lo, v4, v12
	v_add_co_ci_u32_e32 v10, vcc_lo, 0, v7, vcc_lo
	v_mul_lo_u32 v11, s19, v4
	v_mad_u64_u32 v[7:8], null, s18, v4, 0
	v_mul_lo_u32 v12, s18, v10
	v_sub_co_u32 v7, vcc_lo, v5, v7
	v_add3_u32 v8, v8, v12, v11
	v_sub_nc_u32_e32 v11, v6, v8
	v_subrev_co_ci_u32_e64 v11, s0, s19, v11, vcc_lo
	v_add_co_u32 v12, s0, v4, 2
	v_add_co_ci_u32_e64 v13, s0, 0, v10, s0
	v_sub_co_u32 v14, s0, v7, s18
	v_sub_co_ci_u32_e32 v8, vcc_lo, v6, v8, vcc_lo
	v_subrev_co_ci_u32_e64 v11, s0, 0, v11, s0
	v_cmp_le_u32_e32 vcc_lo, s18, v14
	v_cmp_eq_u32_e64 s0, s19, v8
	v_cndmask_b32_e64 v14, 0, -1, vcc_lo
	v_cmp_le_u32_e32 vcc_lo, s19, v11
	v_cndmask_b32_e64 v15, 0, -1, vcc_lo
	v_cmp_le_u32_e32 vcc_lo, s18, v7
	;; [unrolled: 2-line block ×3, first 2 shown]
	v_cndmask_b32_e64 v16, 0, -1, vcc_lo
	v_cmp_eq_u32_e32 vcc_lo, s19, v11
	v_cndmask_b32_e64 v7, v16, v7, s0
	v_cndmask_b32_e32 v11, v15, v14, vcc_lo
	v_add_co_u32 v14, vcc_lo, v4, 1
	v_add_co_ci_u32_e32 v15, vcc_lo, 0, v10, vcc_lo
	v_cmp_ne_u32_e32 vcc_lo, 0, v11
	v_cndmask_b32_e32 v8, v15, v13, vcc_lo
	v_cndmask_b32_e32 v11, v14, v12, vcc_lo
	v_cmp_ne_u32_e32 vcc_lo, 0, v7
	v_cndmask_b32_e32 v8, v10, v8, vcc_lo
	v_cndmask_b32_e32 v7, v4, v11, vcc_lo
.LBB0_4:                                ;   in Loop: Header=BB0_2 Depth=1
	s_andn2_saveexec_b32 s0, s1
	s_cbranch_execz .LBB0_6
; %bb.5:                                ;   in Loop: Header=BB0_2 Depth=1
	v_cvt_f32_u32_e32 v4, s18
	s_sub_i32 s1, 0, s18
	v_rcp_iflag_f32_e32 v4, v4
	v_mul_f32_e32 v4, 0x4f7ffffe, v4
	v_cvt_u32_f32_e32 v4, v4
	v_mul_lo_u32 v7, s1, v4
	v_mul_hi_u32 v7, v4, v7
	v_add_nc_u32_e32 v4, v4, v7
	v_mul_hi_u32 v4, v5, v4
	v_mul_lo_u32 v7, v4, s18
	v_add_nc_u32_e32 v8, 1, v4
	v_sub_nc_u32_e32 v7, v5, v7
	v_subrev_nc_u32_e32 v10, s18, v7
	v_cmp_le_u32_e32 vcc_lo, s18, v7
	v_cndmask_b32_e32 v7, v7, v10, vcc_lo
	v_cndmask_b32_e32 v4, v4, v8, vcc_lo
	v_cmp_le_u32_e32 vcc_lo, s18, v7
	v_add_nc_u32_e32 v8, 1, v4
	v_cndmask_b32_e32 v7, v4, v8, vcc_lo
	v_mov_b32_e32 v8, v3
.LBB0_6:                                ;   in Loop: Header=BB0_2 Depth=1
	s_or_b32 exec_lo, exec_lo, s0
	s_load_dwordx2 s[0:1], s[6:7], 0x0
	v_mul_lo_u32 v4, v8, s18
	v_mul_lo_u32 v12, v7, s19
	v_mad_u64_u32 v[10:11], null, v7, s18, 0
	s_add_u32 s16, s16, 1
	s_addc_u32 s17, s17, 0
	s_add_u32 s6, s6, 8
	s_addc_u32 s7, s7, 0
	;; [unrolled: 2-line block ×3, first 2 shown]
	v_add3_u32 v4, v11, v12, v4
	v_sub_co_u32 v5, vcc_lo, v5, v10
	v_sub_co_ci_u32_e32 v4, vcc_lo, v6, v4, vcc_lo
	s_waitcnt lgkmcnt(0)
	v_mul_lo_u32 v6, s1, v5
	v_mul_lo_u32 v4, s0, v4
	v_mad_u64_u32 v[1:2], null, s0, v5, v[1:2]
	v_cmp_ge_u64_e64 s0, s[16:17], s[10:11]
	s_and_b32 vcc_lo, exec_lo, s0
	v_add3_u32 v2, v6, v2, v4
	s_cbranch_vccnz .LBB0_9
; %bb.7:                                ;   in Loop: Header=BB0_2 Depth=1
	v_mov_b32_e32 v5, v7
	v_mov_b32_e32 v6, v8
	s_branch .LBB0_2
.LBB0_8:
	v_mov_b32_e32 v8, v6
	v_mov_b32_e32 v7, v5
.LBB0_9:
	s_lshl_b64 s[0:1], s[10:11], 3
	v_mul_u32_u24_e32 v135, 0x1e1, v9
	s_add_u32 s0, s12, s0
	s_addc_u32 s1, s13, s1
	v_and_b32_e32 v128, 15, v0
	s_load_dwordx2 s[0:1], s[0:1], 0x0
	s_load_dwordx2 s[4:5], s[4:5], 0x20
	v_lshlrev_b32_e32 v137, 4, v135
	s_waitcnt lgkmcnt(0)
	v_mul_lo_u32 v3, s0, v8
	v_mul_lo_u32 v4, s1, v7
	v_mad_u64_u32 v[1:2], null, s0, v7, v[1:2]
	v_cmp_gt_u64_e32 vcc_lo, s[4:5], v[7:8]
	v_add3_u32 v2, v4, v2, v3
	v_lshlrev_b64 v[130:131], 4, v[1:2]
	s_and_saveexec_b32 s1, vcc_lo
	s_cbranch_execz .LBB0_13
; %bb.10:
	v_lshlrev_b32_e32 v2, 4, v128
	v_add_co_u32 v0, s0, s2, v130
	v_add_co_ci_u32_e64 v1, s0, s3, v131, s0
	v_or_b32_e32 v35, 0x800, v2
	v_add_co_u32 v31, s0, v0, v2
	v_or_b32_e32 v37, 0x900, v2
	v_add_co_ci_u32_e64 v32, s0, 0, v1, s0
	v_add_co_u32 v35, s0, v0, v35
	v_or_b32_e32 v43, 0xa00, v2
	v_add_co_ci_u32_e64 v36, s0, 0, v1, s0
	;; [unrolled: 3-line block ×21, first 2 shown]
	v_add_co_u32 v115, s0, v0, v90
	v_add_co_ci_u32_e64 v116, s0, 0, v1, s0
	v_add_co_u32 v119, s0, v0, v93
	v_add_co_ci_u32_e64 v120, s0, 0, v1, s0
	s_clause 0x1d
	global_load_dwordx4 v[3:6], v[31:32], off
	global_load_dwordx4 v[7:10], v[31:32], off offset:256
	global_load_dwordx4 v[11:14], v[31:32], off offset:512
	;; [unrolled: 1-line block ×7, first 2 shown]
	global_load_dwordx4 v[35:38], v[35:36], off
	global_load_dwordx4 v[39:42], v[39:40], off
	;; [unrolled: 1-line block ×22, first 2 shown]
	v_add3_u32 v2, 0, v137, v2
	v_cmp_eq_u32_e64 s0, 15, v128
	s_waitcnt vmcnt(29)
	ds_write_b128 v2, v[3:6]
	s_waitcnt vmcnt(28)
	ds_write_b128 v2, v[7:10] offset:256
	s_waitcnt vmcnt(27)
	ds_write_b128 v2, v[11:14] offset:512
	;; [unrolled: 2-line block ×29, first 2 shown]
	s_and_saveexec_b32 s4, s0
	s_cbranch_execz .LBB0_12
; %bb.11:
	v_add_co_u32 v0, s0, 0x1800, v0
	v_add_co_ci_u32_e64 v1, s0, 0, v1, s0
	v_mov_b32_e32 v128, 15
	global_load_dwordx4 v[3:6], v[0:1], off offset:1536
	s_waitcnt vmcnt(0)
	ds_write_b128 v2, v[3:6] offset:7440
.LBB0_12:
	s_or_b32 exec_lo, exec_lo, s4
.LBB0_13:
	s_or_b32 exec_lo, exec_lo, s1
	v_lshl_add_u32 v134, v135, 4, 0
	v_lshlrev_b32_e32 v11, 4, v128
	s_waitcnt lgkmcnt(0)
	s_barrier
	buffer_gl0_inv
	v_cmp_ne_u32_e64 s0, 0, v128
	v_add_nc_u32_e32 v136, v134, v11
	v_sub_nc_u32_e32 v10, v134, v11
	s_add_u32 s4, s8, 0x1d60
	s_addc_u32 s5, s9, 0
	ds_read_b64 v[6:7], v136
	ds_read_b64 v[8:9], v10 offset:7680
                                        ; implicit-def: $vgpr4_vgpr5
	s_waitcnt lgkmcnt(0)
	v_add_f64 v[0:1], v[6:7], v[8:9]
	v_add_f64 v[2:3], v[6:7], -v[8:9]
	s_and_saveexec_b32 s1, s0
	s_xor_b32 s0, exec_lo, s1
	s_cbranch_execz .LBB0_15
; %bb.14:
	global_load_dwordx4 v[2:5], v11, s[4:5]
	ds_read_b64 v[0:1], v10 offset:7688
	ds_read_b64 v[12:13], v136 offset:8
	v_add_f64 v[14:15], v[6:7], v[8:9]
	v_add_f64 v[16:17], v[6:7], -v[8:9]
	v_mov_b32_e32 v129, 0
	s_waitcnt lgkmcnt(0)
	v_add_f64 v[6:7], v[0:1], v[12:13]
	v_add_f64 v[0:1], v[12:13], -v[0:1]
	s_waitcnt vmcnt(0)
	v_fma_f64 v[8:9], v[16:17], v[4:5], v[14:15]
	v_fma_f64 v[12:13], -v[16:17], v[4:5], v[14:15]
	v_fma_f64 v[14:15], v[6:7], v[4:5], -v[0:1]
	v_fma_f64 v[4:5], v[6:7], v[4:5], v[0:1]
	v_fma_f64 v[0:1], -v[6:7], v[2:3], v[8:9]
	v_fma_f64 v[6:7], v[6:7], v[2:3], v[12:13]
	v_fma_f64 v[8:9], v[16:17], v[2:3], v[14:15]
	;; [unrolled: 1-line block ×3, first 2 shown]
	v_mov_b32_e32 v4, v128
	v_mov_b32_e32 v5, v129
	ds_write_b128 v10, v[6:9] offset:7680
.LBB0_15:
	s_andn2_saveexec_b32 s0, s0
	s_cbranch_execz .LBB0_17
; %bb.16:
	ds_read_b128 v[4:7], v134 offset:3840
	s_waitcnt lgkmcnt(0)
	v_add_f64 v[12:13], v[4:5], v[4:5]
	v_mul_f64 v[14:15], v[6:7], -2.0
	v_mov_b32_e32 v4, 0
	v_mov_b32_e32 v5, 0
	ds_write_b128 v134, v[12:15] offset:3840
.LBB0_17:
	s_or_b32 exec_lo, exec_lo, s0
	v_lshlrev_b64 v[4:5], 4, v[4:5]
	v_add_nc_u32_e32 v129, 0, v11
	s_mov_b32 s6, 0x134454ff
	s_mov_b32 s7, 0xbfee6f0e
	;; [unrolled: 1-line block ×4, first 2 shown]
	v_add_co_u32 v28, s0, s4, v4
	v_add_co_ci_u32_e64 v29, s0, s5, v5, s0
	v_add_nc_u32_e32 v138, v129, v137
	s_mov_b32 s0, s6
	s_mov_b32 s11, 0xbfe2cf23
	s_clause 0x2
	global_load_dwordx4 v[4:7], v[28:29], off offset:256
	global_load_dwordx4 v[12:15], v[28:29], off offset:512
	;; [unrolled: 1-line block ×3, first 2 shown]
	ds_write_b128 v136, v[0:3]
	ds_read_b128 v[0:3], v136 offset:256
	ds_read_b128 v[20:23], v10 offset:7424
	global_load_dwordx4 v[24:27], v[28:29], off offset:1024
	s_mov_b32 s12, 0x372fe950
	s_mov_b32 s13, 0x3fd3c6ef
	;; [unrolled: 1-line block ×8, first 2 shown]
	s_waitcnt lgkmcnt(0)
	v_add_f64 v[8:9], v[0:1], v[20:21]
	v_add_f64 v[30:31], v[22:23], v[2:3]
	v_add_f64 v[20:21], v[0:1], -v[20:21]
	v_add_f64 v[0:1], v[2:3], -v[22:23]
	s_waitcnt vmcnt(3)
	v_fma_f64 v[2:3], v[20:21], v[6:7], v[8:9]
	v_fma_f64 v[22:23], v[30:31], v[6:7], v[0:1]
	v_fma_f64 v[8:9], -v[20:21], v[6:7], v[8:9]
	v_fma_f64 v[32:33], v[30:31], v[6:7], -v[0:1]
	v_fma_f64 v[0:1], -v[30:31], v[4:5], v[2:3]
	v_fma_f64 v[2:3], v[20:21], v[4:5], v[22:23]
	v_fma_f64 v[6:7], v[30:31], v[4:5], v[8:9]
	v_fma_f64 v[8:9], v[20:21], v[4:5], v[32:33]
	ds_write_b128 v136, v[0:3] offset:256
	ds_write_b128 v10, v[6:9] offset:7424
	ds_read_b128 v[0:3], v136 offset:512
	ds_read_b128 v[4:7], v10 offset:7168
	global_load_dwordx4 v[20:23], v[28:29], off offset:1280
	s_waitcnt lgkmcnt(0)
	v_add_f64 v[8:9], v[0:1], v[4:5]
	v_add_f64 v[30:31], v[6:7], v[2:3]
	v_add_f64 v[32:33], v[0:1], -v[4:5]
	v_add_f64 v[0:1], v[2:3], -v[6:7]
	s_waitcnt vmcnt(3)
	v_fma_f64 v[2:3], v[32:33], v[14:15], v[8:9]
	v_fma_f64 v[4:5], v[30:31], v[14:15], v[0:1]
	v_fma_f64 v[6:7], -v[32:33], v[14:15], v[8:9]
	v_fma_f64 v[8:9], v[30:31], v[14:15], -v[0:1]
	v_fma_f64 v[0:1], -v[30:31], v[12:13], v[2:3]
	v_fma_f64 v[2:3], v[32:33], v[12:13], v[4:5]
	v_fma_f64 v[4:5], v[30:31], v[12:13], v[6:7]
	v_fma_f64 v[6:7], v[32:33], v[12:13], v[8:9]
	ds_write_b128 v136, v[0:3] offset:512
	ds_write_b128 v10, v[4:7] offset:7168
	ds_read_b128 v[0:3], v136 offset:768
	ds_read_b128 v[4:7], v10 offset:6912
	global_load_dwordx4 v[12:15], v[28:29], off offset:1536
	;; [unrolled: 19-line block ×3, first 2 shown]
	s_waitcnt lgkmcnt(0)
	v_add_f64 v[8:9], v[0:1], v[4:5]
	v_add_f64 v[28:29], v[6:7], v[2:3]
	v_add_f64 v[30:31], v[0:1], -v[4:5]
	v_add_f64 v[0:1], v[2:3], -v[6:7]
	s_waitcnt vmcnt(3)
	v_fma_f64 v[2:3], v[30:31], v[26:27], v[8:9]
	v_fma_f64 v[4:5], v[28:29], v[26:27], v[0:1]
	v_fma_f64 v[6:7], -v[30:31], v[26:27], v[8:9]
	v_fma_f64 v[8:9], v[28:29], v[26:27], -v[0:1]
	v_fma_f64 v[0:1], -v[28:29], v[24:25], v[2:3]
	v_fma_f64 v[2:3], v[30:31], v[24:25], v[4:5]
	v_fma_f64 v[4:5], v[28:29], v[24:25], v[6:7]
	v_fma_f64 v[6:7], v[30:31], v[24:25], v[8:9]
	v_or_b32_e32 v8, 0x800, v11
	ds_write_b128 v136, v[0:3] offset:1024
	ds_write_b128 v10, v[4:7] offset:6656
	ds_read_b128 v[0:3], v136 offset:1280
	ds_read_b128 v[4:7], v10 offset:6400
	global_load_dwordx4 v[24:27], v8, s[4:5]
	s_waitcnt lgkmcnt(0)
	v_add_f64 v[8:9], v[0:1], v[4:5]
	v_add_f64 v[28:29], v[6:7], v[2:3]
	v_add_f64 v[30:31], v[0:1], -v[4:5]
	v_add_f64 v[0:1], v[2:3], -v[6:7]
	s_waitcnt vmcnt(3)
	v_fma_f64 v[2:3], v[30:31], v[22:23], v[8:9]
	v_fma_f64 v[4:5], v[28:29], v[22:23], v[0:1]
	v_fma_f64 v[6:7], -v[30:31], v[22:23], v[8:9]
	v_fma_f64 v[8:9], v[28:29], v[22:23], -v[0:1]
	v_fma_f64 v[0:1], -v[28:29], v[20:21], v[2:3]
	v_fma_f64 v[2:3], v[30:31], v[20:21], v[4:5]
	v_fma_f64 v[4:5], v[28:29], v[20:21], v[6:7]
	v_fma_f64 v[6:7], v[30:31], v[20:21], v[8:9]
	v_or_b32_e32 v8, 0x900, v11
	ds_write_b128 v136, v[0:3] offset:1280
	ds_write_b128 v10, v[4:7] offset:6400
	ds_read_b128 v[0:3], v136 offset:1536
	ds_read_b128 v[4:7], v10 offset:6144
	global_load_dwordx4 v[20:23], v8, s[4:5]
	;; [unrolled: 20-line block ×7, first 2 shown]
	s_mov_b32 s5, 0x3fe2cf23
	s_mov_b32 s4, s10
	s_waitcnt lgkmcnt(0)
	v_add_f64 v[8:9], v[0:1], v[4:5]
	v_add_f64 v[28:29], v[6:7], v[2:3]
	v_add_f64 v[30:31], v[0:1], -v[4:5]
	v_add_f64 v[0:1], v[2:3], -v[6:7]
	s_waitcnt vmcnt(3)
	v_fma_f64 v[2:3], v[30:31], v[18:19], v[8:9]
	v_fma_f64 v[4:5], v[28:29], v[18:19], v[0:1]
	v_fma_f64 v[6:7], -v[30:31], v[18:19], v[8:9]
	v_fma_f64 v[8:9], v[28:29], v[18:19], -v[0:1]
	v_fma_f64 v[0:1], -v[28:29], v[16:17], v[2:3]
	v_fma_f64 v[2:3], v[30:31], v[16:17], v[4:5]
	v_fma_f64 v[4:5], v[28:29], v[16:17], v[6:7]
	v_fma_f64 v[6:7], v[30:31], v[16:17], v[8:9]
	ds_write_b128 v136, v[0:3] offset:2816
	ds_write_b128 v10, v[4:7] offset:4864
	ds_read_b128 v[0:3], v136 offset:3072
	ds_read_b128 v[4:7], v10 offset:4608
	s_waitcnt lgkmcnt(0)
	v_add_f64 v[8:9], v[0:1], v[4:5]
	v_add_f64 v[16:17], v[6:7], v[2:3]
	v_add_f64 v[18:19], v[0:1], -v[4:5]
	v_add_f64 v[0:1], v[2:3], -v[6:7]
	s_waitcnt vmcnt(2)
	v_fma_f64 v[2:3], v[18:19], v[26:27], v[8:9]
	v_fma_f64 v[4:5], v[16:17], v[26:27], v[0:1]
	v_fma_f64 v[6:7], -v[18:19], v[26:27], v[8:9]
	v_fma_f64 v[8:9], v[16:17], v[26:27], -v[0:1]
	v_fma_f64 v[0:1], -v[16:17], v[24:25], v[2:3]
	v_fma_f64 v[2:3], v[18:19], v[24:25], v[4:5]
	v_fma_f64 v[4:5], v[16:17], v[24:25], v[6:7]
	v_fma_f64 v[6:7], v[18:19], v[24:25], v[8:9]
	ds_write_b128 v136, v[0:3] offset:3072
	ds_write_b128 v10, v[4:7] offset:4608
	ds_read_b128 v[0:3], v136 offset:3328
	ds_read_b128 v[4:7], v10 offset:4352
	;; [unrolled: 18-line block ×3, first 2 shown]
	s_waitcnt lgkmcnt(0)
	v_add_f64 v[8:9], v[0:1], v[4:5]
	v_add_f64 v[16:17], v[6:7], v[2:3]
	v_add_f64 v[18:19], v[0:1], -v[4:5]
	v_add_f64 v[0:1], v[2:3], -v[6:7]
	s_waitcnt vmcnt(0)
	v_fma_f64 v[2:3], v[18:19], v[14:15], v[8:9]
	v_fma_f64 v[4:5], v[16:17], v[14:15], v[0:1]
	v_fma_f64 v[6:7], -v[18:19], v[14:15], v[8:9]
	v_fma_f64 v[8:9], v[16:17], v[14:15], -v[0:1]
	v_fma_f64 v[0:1], -v[16:17], v[12:13], v[2:3]
	v_fma_f64 v[2:3], v[18:19], v[12:13], v[4:5]
	v_fma_f64 v[4:5], v[16:17], v[12:13], v[6:7]
	v_fma_f64 v[6:7], v[18:19], v[12:13], v[8:9]
	v_mul_u32_u24_e32 v8, 10, v128
	ds_write_b128 v136, v[0:3] offset:3584
	ds_write_b128 v10, v[4:7] offset:4096
	v_lshlrev_b32_e32 v253, 4, v8
	s_waitcnt lgkmcnt(0)
	s_barrier
	buffer_gl0_inv
	s_barrier
	buffer_gl0_inv
	ds_read_b128 v[0:3], v138 offset:1536
	ds_read_b128 v[4:7], v138 offset:1792
	;; [unrolled: 1-line block ×8, first 2 shown]
	ds_read_b128 v[32:35], v136
	ds_read_b128 v[36:39], v138 offset:256
	ds_read_b128 v[40:43], v138 offset:3840
	;; [unrolled: 1-line block ×21, first 2 shown]
	s_waitcnt lgkmcnt(25)
	v_add_f64 v[120:121], v[8:9], v[16:17]
	s_waitcnt lgkmcnt(23)
	v_add_f64 v[122:123], v[0:1], v[24:25]
	v_add_f64 v[124:125], v[10:11], v[18:19]
	;; [unrolled: 1-line block ×3, first 2 shown]
	s_waitcnt lgkmcnt(21)
	v_add_f64 v[139:140], v[34:35], v[2:3]
	s_waitcnt lgkmcnt(17)
	v_add_f64 v[161:162], v[40:41], v[48:49]
	v_add_f64 v[165:166], v[42:43], v[50:51]
	;; [unrolled: 1-line block ×3, first 2 shown]
	s_waitcnt lgkmcnt(11)
	v_add_f64 v[163:164], v[64:65], v[72:73]
	v_add_f64 v[193:194], v[4:5], v[28:29]
	;; [unrolled: 1-line block ×7, first 2 shown]
	v_add_f64 v[141:142], v[2:3], -v[26:27]
	s_waitcnt lgkmcnt(3)
	v_add_f64 v[203:204], v[96:97], v[104:105]
	v_add_f64 v[205:206], v[98:99], v[106:107]
	v_add_f64 v[147:148], v[2:3], -v[10:11]
	v_add_f64 v[2:3], v[10:11], -v[2:3]
	;; [unrolled: 1-line block ×4, first 2 shown]
	v_add_f64 v[167:168], v[66:67], v[74:75]
	v_add_f64 v[169:170], v[56:57], v[64:65]
	;; [unrolled: 1-line block ×4, first 2 shown]
	s_waitcnt lgkmcnt(1)
	v_add_f64 v[217:218], v[104:105], v[112:113]
	v_add_f64 v[219:220], v[82:83], v[90:91]
	;; [unrolled: 1-line block ×3, first 2 shown]
	v_fma_f64 v[120:121], v[120:121], -0.5, v[32:33]
	v_fma_f64 v[32:33], v[122:123], -0.5, v[32:33]
	;; [unrolled: 1-line block ×4, first 2 shown]
	v_add_f64 v[126:127], v[68:69], v[76:77]
	v_add_f64 v[10:11], v[139:140], v[10:11]
	;; [unrolled: 1-line block ×4, first 2 shown]
	v_add_f64 v[239:240], v[104:105], -v[80:81]
	v_add_f64 v[241:242], v[80:81], -v[104:105]
	;; [unrolled: 1-line block ×3, first 2 shown]
	v_fma_f64 v[161:162], v[161:162], -0.5, v[56:57]
	v_fma_f64 v[56:57], v[163:164], -0.5, v[56:57]
	;; [unrolled: 1-line block ×3, first 2 shown]
	v_add_f64 v[165:166], v[62:63], v[70:71]
	v_fma_f64 v[191:192], v[191:192], -0.5, v[36:37]
	v_fma_f64 v[36:37], v[193:194], -0.5, v[36:37]
	;; [unrolled: 1-line block ×4, first 2 shown]
	v_add_f64 v[195:196], v[86:87], v[94:95]
	s_waitcnt lgkmcnt(0)
	v_add_f64 v[197:198], v[110:111], v[118:119]
	v_add_f64 v[80:81], v[203:204], v[80:81]
	;; [unrolled: 1-line block ×3, first 2 shown]
	v_add_f64 v[237:238], v[82:83], -v[90:91]
	v_add_f64 v[245:246], v[106:107], -v[82:83]
	;; [unrolled: 1-line block ×3, first 2 shown]
	v_add_f64 v[82:83], v[205:206], v[82:83]
	v_add_f64 v[205:206], v[102:103], v[110:111]
	v_add_f64 v[179:180], v[66:67], -v[42:43]
	v_add_f64 v[189:190], v[74:75], -v[50:51]
	;; [unrolled: 1-line block ×21, first 2 shown]
	v_add_f64 v[124:125], v[46:47], v[54:55]
	v_add_f64 v[8:9], v[132:133], v[8:9]
	;; [unrolled: 1-line block ×7, first 2 shown]
	v_add_f64 v[64:65], v[64:65], -v[72:73]
	v_add_f64 v[181:182], v[42:43], -v[50:51]
	;; [unrolled: 1-line block ×5, first 2 shown]
	v_fma_f64 v[58:59], v[167:168], -0.5, v[58:59]
	v_add_f64 v[40:41], v[169:170], v[40:41]
	v_add_f64 v[42:43], v[171:172], v[42:43]
	v_add_f64 v[169:170], v[68:69], -v[44:45]
	v_add_f64 v[171:172], v[44:45], -v[68:69]
	v_fma_f64 v[215:216], v[215:216], -0.5, v[96:97]
	v_fma_f64 v[96:97], v[217:218], -0.5, v[96:97]
	v_fma_f64 v[217:218], v[219:220], -0.5, v[98:99]
	v_add_f64 v[219:220], v[44:45], -v[52:53]
	v_fma_f64 v[251:252], v[251:252], -0.5, v[60:61]
	v_fma_f64 v[60:61], v[126:127], -0.5, v[60:61]
	v_add_f64 v[126:127], v[46:47], -v[70:71]
	v_add_f64 v[44:45], v[139:140], v[44:45]
	v_add_f64 v[159:160], v[2:3], v[159:160]
	v_add_f64 v[2:3], v[54:55], -v[78:79]
	v_add_f64 v[167:168], v[46:47], -v[54:55]
	v_fma_f64 v[98:99], v[221:222], -0.5, v[98:99]
	v_add_f64 v[221:222], v[70:71], -v[46:47]
	v_add_f64 v[46:47], v[165:166], v[46:47]
	v_add_f64 v[139:140], v[108:109], -v[84:85]
	v_add_f64 v[165:166], v[84:85], -v[108:109]
	v_fma_f64 v[195:196], v[195:196], -0.5, v[102:103]
	v_fma_f64 v[102:103], v[197:198], -0.5, v[102:103]
	v_add_f64 v[197:198], v[84:85], -v[92:93]
	v_add_f64 v[84:85], v[203:204], v[84:85]
	v_add_f64 v[0:1], v[0:1], -v[24:25]
	v_add_f64 v[203:204], v[205:206], v[86:87]
	v_add_f64 v[155:156], v[16:17], -v[24:25]
	v_add_f64 v[229:230], v[28:29], -v[20:21]
	;; [unrolled: 1-line block ×4, first 2 shown]
	v_add_f64 v[179:180], v[179:180], v[189:190]
	v_add_f64 v[189:190], v[52:53], -v[76:77]
	v_add_f64 v[233:234], v[30:31], -v[22:23]
	;; [unrolled: 1-line block ×3, first 2 shown]
	v_add_f64 v[177:178], v[177:178], v[187:188]
	v_add_f64 v[187:188], v[116:117], -v[92:93]
	v_fma_f64 v[124:125], v[124:125], -0.5, v[62:63]
	v_fma_f64 v[62:63], v[132:133], -0.5, v[62:63]
	v_add_f64 v[132:133], v[86:87], -v[94:95]
	v_fma_f64 v[199:200], v[199:200], -0.5, v[100:101]
	v_fma_f64 v[100:101], v[201:202], -0.5, v[100:101]
	v_add_f64 v[201:202], v[110:111], -v[86:87]
	v_add_f64 v[86:87], v[86:87], -v[110:111]
	;; [unrolled: 1-line block ×5, first 2 shown]
	v_add_f64 v[143:144], v[143:144], v[153:154]
	v_add_f64 v[153:154], v[114:115], -v[90:91]
	v_add_f64 v[147:148], v[147:148], v[157:158]
	v_add_f64 v[157:158], v[90:91], -v[114:115]
	;; [unrolled: 2-line block ×4, first 2 shown]
	v_add_f64 v[213:214], v[213:214], v[231:232]
	v_add_f64 v[231:232], v[6:7], v[235:236]
	;; [unrolled: 1-line block ×12, first 2 shown]
	v_fma_f64 v[80:81], v[183:184], s[6:7], v[58:59]
	v_fma_f64 v[82:83], v[64:65], s[0:1], v[163:164]
	;; [unrolled: 1-line block ×3, first 2 shown]
	v_add_f64 v[40:41], v[84:85], v[92:93]
	v_fma_f64 v[44:45], v[149:150], s[0:1], v[32:33]
	v_fma_f64 v[32:33], v[149:150], s[6:7], v[32:33]
	;; [unrolled: 1-line block ×4, first 2 shown]
	v_add_f64 v[249:250], v[112:113], -v[88:89]
	v_add_f64 v[22:23], v[46:47], v[54:55]
	v_fma_f64 v[46:47], v[151:152], s[6:7], v[34:35]
	v_fma_f64 v[34:35], v[151:152], s[0:1], v[34:35]
	v_fma_f64 v[52:53], v[0:1], s[0:1], v[122:123]
	v_fma_f64 v[84:85], v[64:65], s[6:7], v[163:164]
	v_fma_f64 v[88:89], v[181:182], s[0:1], v[56:57]
	v_fma_f64 v[56:57], v[181:182], s[6:7], v[56:57]
	v_add_f64 v[42:43], v[203:204], v[94:95]
	v_add_f64 v[145:146], v[145:146], v[155:156]
	v_add_f64 v[155:156], v[78:79], -v[54:55]
	v_add_f64 v[211:212], v[211:212], v[229:230]
	v_add_f64 v[229:230], v[92:93], -v[116:117]
	v_add_f64 v[171:172], v[171:172], v[189:190]
	v_fma_f64 v[54:55], v[0:1], s[6:7], v[122:123]
	v_fma_f64 v[92:93], v[173:174], s[0:1], v[161:162]
	;; [unrolled: 1-line block ×8, first 2 shown]
	v_add_f64 v[223:224], v[223:224], v[233:234]
	v_add_f64 v[233:234], v[94:95], -v[118:119]
	v_fma_f64 v[94:95], v[225:226], s[0:1], v[36:37]
	v_fma_f64 v[36:37], v[225:226], s[6:7], v[36:37]
	v_add_f64 v[139:140], v[139:140], v[187:188]
	v_fma_f64 v[163:164], v[4:5], s[0:1], v[193:194]
	v_fma_f64 v[187:188], v[4:5], s[6:7], v[193:194]
	;; [unrolled: 1-line block ×3, first 2 shown]
	v_add_f64 v[70:71], v[70:71], -v[78:79]
	v_add_f64 v[68:69], v[68:69], -v[76:77]
	v_add_f64 v[153:154], v[245:246], v[153:154]
	v_add_f64 v[205:206], v[241:242], v[205:206]
	;; [unrolled: 1-line block ×5, first 2 shown]
	v_fma_f64 v[50:51], v[141:142], s[0:1], v[120:121]
	v_fma_f64 v[201:202], v[237:238], s[0:1], v[96:97]
	;; [unrolled: 1-line block ×17, first 2 shown]
	v_add_f64 v[2:3], v[2:3], v[24:25]
	v_add_f64 v[24:25], v[6:7], v[26:27]
	;; [unrolled: 1-line block ×8, first 2 shown]
	v_fma_f64 v[74:75], v[64:65], s[4:5], v[80:81]
	v_fma_f64 v[76:77], v[183:184], s[4:5], v[82:83]
	v_fma_f64 v[80:81], v[181:182], s[10:11], v[90:91]
	v_add_f64 v[40:41], v[40:41], v[116:117]
	v_add_f64 v[18:19], v[18:19], v[114:115]
	v_fma_f64 v[32:33], v[141:142], s[4:5], v[32:33]
	v_fma_f64 v[58:59], v[64:65], s[10:11], v[58:59]
	;; [unrolled: 1-line block ×3, first 2 shown]
	v_add_f64 v[72:73], v[22:23], v[78:79]
	v_fma_f64 v[34:35], v[0:1], s[10:11], v[34:35]
	v_fma_f64 v[56:57], v[173:174], s[4:5], v[56:57]
	;; [unrolled: 1-line block ×4, first 2 shown]
	v_add_f64 v[42:43], v[42:43], v[118:119]
	v_add_f64 v[239:240], v[239:240], v[249:250]
	v_fma_f64 v[64:65], v[173:174], s[10:11], v[88:89]
	v_fma_f64 v[82:83], v[181:182], s[4:5], v[92:93]
	;; [unrolled: 1-line block ×9, first 2 shown]
	v_add_f64 v[155:156], v[221:222], v[155:156]
	v_add_f64 v[165:166], v[165:166], v[229:230]
	;; [unrolled: 1-line block ×3, first 2 shown]
	v_fma_f64 v[221:222], v[70:71], s[6:7], v[251:252]
	v_fma_f64 v[229:230], v[70:71], s[0:1], v[251:252]
	;; [unrolled: 1-line block ×25, first 2 shown]
	v_add_f64 v[4:5], v[2:3], v[8:9]
	v_add_f64 v[6:7], v[24:25], v[10:11]
	v_add_f64 v[10:11], v[24:25], -v[10:11]
	v_add_f64 v[12:13], v[26:27], v[16:17]
	v_add_f64 v[16:17], v[26:27], -v[16:17]
	v_fma_f64 v[24:25], v[179:180], s[12:13], v[76:77]
	v_fma_f64 v[26:27], v[175:176], s[12:13], v[80:81]
	;; [unrolled: 1-line block ×3, first 2 shown]
	v_add_f64 v[8:9], v[2:3], -v[8:9]
	v_add_f64 v[20:21], v[30:31], v[40:41]
	v_add_f64 v[0:1], v[30:31], -v[40:41]
	v_fma_f64 v[40:41], v[66:67], s[12:13], v[74:75]
	v_add_f64 v[14:15], v[28:29], v[18:19]
	v_add_f64 v[18:19], v[28:29], -v[18:19]
	v_fma_f64 v[28:29], v[143:144], s[12:13], v[48:49]
	v_fma_f64 v[48:49], v[145:146], s[12:13], v[32:33]
	;; [unrolled: 1-line block ×7, first 2 shown]
	v_add_f64 v[22:23], v[72:73], v[42:43]
	v_add_f64 v[2:3], v[72:73], -v[42:43]
	v_fma_f64 v[42:43], v[177:178], s[12:13], v[64:65]
	v_fma_f64 v[64:65], v[153:154], s[12:13], v[98:99]
	;; [unrolled: 1-line block ×12, first 2 shown]
	v_add3_u32 v253, 0, v253, v137
	v_fma_f64 v[124:125], v[219:220], s[10:11], v[124:125]
	v_fma_f64 v[68:69], v[86:87], s[12:13], v[68:69]
	;; [unrolled: 1-line block ×10, first 2 shown]
	s_barrier
	buffer_gl0_inv
	ds_write_b128 v253, v[4:7]
	ds_write_b128 v253, v[8:11] offset:80
	ds_write_b128 v253, v[12:15] offset:2560
	;; [unrolled: 1-line block ×4, first 2 shown]
	v_mul_f64 v[4:5], v[24:25], s[10:11]
	v_mul_f64 v[6:7], v[26:27], s[4:5]
	;; [unrolled: 1-line block ×6, first 2 shown]
	v_fma_f64 v[54:55], v[151:152], s[10:11], v[54:55]
	v_fma_f64 v[58:59], v[143:144], s[12:13], v[50:51]
	;; [unrolled: 1-line block ×3, first 2 shown]
	v_mul_f64 v[16:17], v[56:57], s[10:11]
	v_mul_f64 v[18:19], v[56:57], s[14:15]
	;; [unrolled: 1-line block ×6, first 2 shown]
	v_fma_f64 v[82:83], v[231:232], s[12:13], v[88:89]
	v_fma_f64 v[88:89], v[231:232], s[12:13], v[38:39]
	;; [unrolled: 1-line block ×3, first 2 shown]
	v_mul_f64 v[56:57], v[36:37], s[6:7]
	v_mul_f64 v[36:37], v[36:37], s[16:17]
	v_fma_f64 v[96:97], v[239:240], s[12:13], v[120:121]
	v_mul_f64 v[76:77], v[90:91], s[10:11]
	v_mul_f64 v[90:91], v[90:91], s[14:15]
	v_fma_f64 v[151:152], v[167:168], s[10:11], v[221:222]
	v_fma_f64 v[161:162], v[219:220], s[4:5], v[233:234]
	;; [unrolled: 1-line block ×4, first 2 shown]
	v_mul_f64 v[120:121], v[98:99], s[10:11]
	v_mul_f64 v[122:123], v[104:105], s[4:5]
	v_fma_f64 v[108:109], v[165:166], s[12:13], v[108:109]
	v_fma_f64 v[102:103], v[155:156], s[12:13], v[124:125]
	v_mul_f64 v[124:125], v[68:69], s[6:7]
	v_mul_f64 v[68:69], v[68:69], s[12:13]
	v_fma_f64 v[118:119], v[126:127], s[12:13], v[62:63]
	v_fma_f64 v[62:63], v[165:166], s[12:13], v[100:101]
	;; [unrolled: 4-line block ×4, first 2 shown]
	v_fma_f64 v[44:45], v[145:146], s[12:13], v[44:45]
	v_fma_f64 v[46:47], v[159:160], s[12:13], v[46:47]
	;; [unrolled: 1-line block ×29, first 2 shown]
	v_add_f64 v[24:25], v[28:29], v[4:5]
	v_add_f64 v[26:27], v[30:31], v[6:7]
	;; [unrolled: 1-line block ×6, first 2 shown]
	v_add_f64 v[36:37], v[44:45], -v[8:9]
	v_add_f64 v[44:45], v[48:49], -v[12:13]
	v_add_f64 v[48:49], v[58:59], v[16:17]
	v_add_f64 v[50:51], v[54:55], v[18:19]
	v_add_f64 v[28:29], v[28:29], -v[4:5]
	v_add_f64 v[30:31], v[30:31], -v[6:7]
	;; [unrolled: 1-line block ×6, first 2 shown]
	v_add_f64 v[56:57], v[72:73], v[20:21]
	v_add_f64 v[58:59], v[74:75], v[22:23]
	;; [unrolled: 1-line block ×4, first 2 shown]
	v_add_f64 v[60:61], v[72:73], -v[20:21]
	v_add_f64 v[62:63], v[74:75], -v[22:23]
	v_add_f64 v[72:73], v[84:85], v[141:142]
	v_add_f64 v[74:75], v[88:89], v[143:144]
	v_add_f64 v[68:69], v[80:81], -v[139:140]
	v_add_f64 v[70:71], v[82:83], -v[78:79]
	v_add_f64 v[80:81], v[92:93], v[145:146]
	v_add_f64 v[82:83], v[94:95], v[90:91]
	v_add_f64 v[76:77], v[84:85], -v[141:142]
	v_add_f64 v[78:79], v[88:89], -v[143:144]
	;; [unrolled: 1-line block ×4, first 2 shown]
	v_add_f64 v[88:89], v[106:107], v[96:97]
	v_add_f64 v[90:91], v[110:111], v[98:99]
	;; [unrolled: 1-line block ×4, first 2 shown]
	v_add_f64 v[8:9], v[106:107], -v[96:97]
	v_add_f64 v[10:11], v[110:111], -v[98:99]
	v_add_f64 v[96:97], v[116:117], v[120:121]
	v_add_f64 v[98:99], v[118:119], v[122:123]
	;; [unrolled: 1-line block ×4, first 2 shown]
	v_add_f64 v[12:13], v[112:113], -v[104:105]
	v_add_f64 v[14:15], v[114:115], -v[108:109]
	ds_write_b128 v253, v[0:3] offset:5200
	v_add_f64 v[16:17], v[116:117], -v[120:121]
	v_add_f64 v[18:19], v[118:119], -v[122:123]
	;; [unrolled: 1-line block ×4, first 2 shown]
	ds_write_b128 v253, v[24:27] offset:16
	ds_write_b128 v253, v[32:35] offset:32
	;; [unrolled: 1-line block ×24, first 2 shown]
	s_waitcnt lgkmcnt(0)
	s_barrier
	buffer_gl0_inv
	ds_read_b128 v[40:43], v136
	ds_read_b128 v[36:39], v138 offset:256
	ds_read_b128 v[116:119], v138 offset:1920
	;; [unrolled: 1-line block ×23, first 2 shown]
	v_cmp_gt_u32_e64 s0, 12, v128
                                        ; implicit-def: $vgpr26_vgpr27
                                        ; implicit-def: $vgpr30_vgpr31
	s_and_saveexec_b32 s1, s0
	s_cbranch_execz .LBB0_19
; %bb.18:
	ds_read_b128 v[4:7], v138 offset:768
	ds_read_b128 v[0:3], v138 offset:1728
	ds_read_b128 v[8:11], v138 offset:2688
	ds_read_b128 v[12:15], v138 offset:3648
	ds_read_b128 v[16:19], v138 offset:4608
	ds_read_b128 v[20:23], v138 offset:5568
	ds_read_b128 v[24:27], v138 offset:6528
	ds_read_b128 v[28:31], v138 offset:7488
.LBB0_19:
	s_or_b32 exec_lo, exec_lo, s1
	v_add_nc_u32_e32 v132, -10, v128
	v_cmp_gt_u32_e64 s1, 10, v128
	v_mov_b32_e32 v133, 0
	s_mov_b32 s4, 0x667f3bcd
	s_mov_b32 s5, 0xbfe6a09e
	s_mov_b32 s7, 0x3fe6a09e
	v_cndmask_b32_e64 v139, v132, v128, s1
	s_mov_b32 s6, s4
	v_mul_i32_i24_e32 v132, 7, v139
	v_lshlrev_b64 v[132:133], 4, v[132:133]
	v_add_co_u32 v148, s1, s8, v132
	v_add_co_ci_u32_e64 v149, s1, s9, v133, s1
	v_cmp_lt_u32_e64 s1, 9, v128
	s_clause 0x1
	global_load_dwordx4 v[140:143], v[148:149], off
	global_load_dwordx4 v[144:147], v[148:149], off offset:16
	s_waitcnt vmcnt(1) lgkmcnt(15)
	v_mul_f64 v[132:133], v[126:127], v[142:143]
	v_fma_f64 v[132:133], v[124:125], v[140:141], v[132:133]
	v_mul_f64 v[124:125], v[124:125], v[142:143]
	v_fma_f64 v[124:125], v[126:127], v[140:141], -v[124:125]
	s_waitcnt vmcnt(0)
	v_mul_f64 v[126:127], v[118:119], v[146:147]
	v_fma_f64 v[126:127], v[116:117], v[144:145], v[126:127]
	v_mul_f64 v[116:117], v[116:117], v[146:147]
	v_fma_f64 v[116:117], v[118:119], v[144:145], -v[116:117]
	s_clause 0x1
	global_load_dwordx4 v[140:143], v[148:149], off offset:32
	global_load_dwordx4 v[144:147], v[148:149], off offset:48
	s_waitcnt vmcnt(1) lgkmcnt(11)
	v_mul_f64 v[118:119], v[122:123], v[142:143]
	v_fma_f64 v[118:119], v[120:121], v[140:141], v[118:119]
	v_mul_f64 v[120:121], v[120:121], v[142:143]
	v_fma_f64 v[120:121], v[122:123], v[140:141], -v[120:121]
	s_waitcnt vmcnt(0)
	v_mul_f64 v[122:123], v[110:111], v[146:147]
	v_fma_f64 v[122:123], v[108:109], v[144:145], v[122:123]
	v_mul_f64 v[108:109], v[108:109], v[146:147]
	v_fma_f64 v[144:145], v[110:111], v[144:145], -v[108:109]
	s_clause 0x1
	global_load_dwordx4 v[108:111], v[148:149], off offset:64
	global_load_dwordx4 v[140:143], v[148:149], off offset:80
	s_waitcnt vmcnt(1) lgkmcnt(7)
	v_mul_f64 v[146:147], v[114:115], v[110:111]
	v_mul_f64 v[110:111], v[112:113], v[110:111]
	v_fma_f64 v[146:147], v[112:113], v[108:109], v[146:147]
	v_fma_f64 v[150:151], v[114:115], v[108:109], -v[110:111]
	s_waitcnt vmcnt(0)
	v_mul_f64 v[108:109], v[106:107], v[142:143]
	v_fma_f64 v[152:153], v[104:105], v[140:141], v[108:109]
	v_mul_f64 v[104:105], v[104:105], v[142:143]
	v_fma_f64 v[140:141], v[106:107], v[140:141], -v[104:105]
	v_or_b32_e32 v105, 16, v128
	v_mul_lo_u16 v104, v105, 26
	v_lshrrev_b16 v104, 8, v104
	v_mul_lo_u16 v106, v104, 10
	v_sub_nc_u16 v105, v105, v106
	v_mov_b32_e32 v106, 4
	v_mul_lo_u16 v107, v105, 7
	v_lshlrev_b32_sdwa v115, v106, v107 dst_sel:DWORD dst_unused:UNUSED_PAD src0_sel:DWORD src1_sel:BYTE_0
	s_clause 0x1
	global_load_dwordx4 v[107:110], v[148:149], off offset:96
	global_load_dwordx4 v[111:114], v115, s[8:9]
	s_waitcnt vmcnt(1) lgkmcnt(3)
	v_mul_f64 v[142:143], v[102:103], v[109:110]
	v_fma_f64 v[142:143], v[100:101], v[107:108], v[142:143]
	v_mul_f64 v[100:101], v[100:101], v[109:110]
	v_add_f64 v[142:143], v[118:119], -v[142:143]
	v_fma_f64 v[148:149], v[102:103], v[107:108], -v[100:101]
	s_waitcnt vmcnt(0)
	v_mul_f64 v[100:101], v[98:99], v[113:114]
	v_fma_f64 v[118:119], v[118:119], 2.0, -v[142:143]
	v_add_f64 v[148:149], v[120:121], -v[148:149]
	v_fma_f64 v[100:101], v[96:97], v[111:112], v[100:101]
	v_mul_f64 v[96:97], v[96:97], v[113:114]
	v_fma_f64 v[96:97], v[98:99], v[111:112], -v[96:97]
	s_clause 0x1
	global_load_dwordx4 v[107:110], v115, s[8:9] offset:16
	global_load_dwordx4 v[111:114], v115, s[8:9] offset:32
	s_waitcnt vmcnt(1)
	v_mul_f64 v[98:99], v[90:91], v[109:110]
	v_fma_f64 v[98:99], v[88:89], v[107:108], v[98:99]
	v_mul_f64 v[88:89], v[88:89], v[109:110]
	v_fma_f64 v[90:91], v[90:91], v[107:108], -v[88:89]
	s_waitcnt vmcnt(0)
	v_mul_f64 v[88:89], v[94:95], v[113:114]
	v_fma_f64 v[88:89], v[92:93], v[111:112], v[88:89]
	v_mul_f64 v[92:93], v[92:93], v[113:114]
	v_fma_f64 v[92:93], v[94:95], v[111:112], -v[92:93]
	s_clause 0x1
	global_load_dwordx4 v[107:110], v115, s[8:9] offset:48
	global_load_dwordx4 v[111:114], v115, s[8:9] offset:64
	s_waitcnt vmcnt(1)
	v_mul_f64 v[94:95], v[82:83], v[109:110]
	v_fma_f64 v[94:95], v[80:81], v[107:108], v[94:95]
	v_mul_f64 v[80:81], v[80:81], v[109:110]
	v_fma_f64 v[102:103], v[82:83], v[107:108], -v[80:81]
	s_waitcnt vmcnt(0)
	v_mul_f64 v[80:81], v[86:87], v[113:114]
	v_mul_f64 v[82:83], v[84:85], v[113:114]
	v_fma_f64 v[80:81], v[84:85], v[111:112], v[80:81]
	v_fma_f64 v[82:83], v[86:87], v[111:112], -v[82:83]
	s_clause 0x1
	global_load_dwordx4 v[107:110], v115, s[8:9] offset:80
	global_load_dwordx4 v[111:114], v115, s[8:9] offset:96
	v_mov_b32_e32 v86, 7
	v_add_f64 v[80:81], v[100:101], -v[80:81]
	v_add_f64 v[82:83], v[96:97], -v[82:83]
	s_waitcnt vmcnt(1)
	v_mul_f64 v[84:85], v[74:75], v[109:110]
	v_fma_f64 v[84:85], v[72:73], v[107:108], v[84:85]
	v_mul_f64 v[72:73], v[72:73], v[109:110]
	v_add_f64 v[84:85], v[98:99], -v[84:85]
	v_fma_f64 v[74:75], v[74:75], v[107:108], -v[72:73]
	s_waitcnt vmcnt(0) lgkmcnt(1)
	v_mul_f64 v[72:73], v[78:79], v[113:114]
	v_add_f64 v[74:75], v[90:91], -v[74:75]
	v_fma_f64 v[72:73], v[76:77], v[111:112], v[72:73]
	v_mul_f64 v[76:77], v[76:77], v[113:114]
	v_add_f64 v[72:73], v[88:89], -v[72:73]
	v_fma_f64 v[76:77], v[78:79], v[111:112], -v[76:77]
	v_or_b32_e32 v78, 32, v128
	v_mul_lo_u16 v79, v78, 26
	v_lshrrev_b16 v87, 8, v79
	v_mul_lo_u16 v79, v87, 10
	v_sub_nc_u16 v107, v78, v79
	v_add_f64 v[76:77], v[92:93], -v[76:77]
	v_mul_u32_u24_sdwa v78, v107, v86 dst_sel:DWORD dst_unused:UNUSED_PAD src0_sel:BYTE_0 src1_sel:DWORD
	v_lshlrev_b32_e32 v154, 4, v78
	s_clause 0x1
	global_load_dwordx4 v[108:111], v154, s[8:9]
	global_load_dwordx4 v[112:115], v154, s[8:9] offset:16
	s_waitcnt vmcnt(1)
	v_mul_f64 v[78:79], v[70:71], v[110:111]
	v_fma_f64 v[78:79], v[68:69], v[108:109], v[78:79]
	v_mul_f64 v[68:69], v[68:69], v[110:111]
	v_fma_f64 v[70:71], v[70:71], v[108:109], -v[68:69]
	s_waitcnt vmcnt(0)
	v_mul_f64 v[68:69], v[66:67], v[114:115]
	v_fma_f64 v[68:69], v[64:65], v[112:113], v[68:69]
	v_mul_f64 v[64:65], v[64:65], v[114:115]
	v_fma_f64 v[64:65], v[66:67], v[112:113], -v[64:65]
	s_clause 0x1
	global_load_dwordx4 v[108:111], v154, s[8:9] offset:32
	global_load_dwordx4 v[112:115], v154, s[8:9] offset:48
	s_waitcnt vmcnt(1)
	v_mul_f64 v[66:67], v[62:63], v[110:111]
	v_fma_f64 v[66:67], v[60:61], v[108:109], v[66:67]
	v_mul_f64 v[60:61], v[60:61], v[110:111]
	v_fma_f64 v[60:61], v[62:63], v[108:109], -v[60:61]
	s_waitcnt vmcnt(0)
	v_mul_f64 v[62:63], v[58:59], v[114:115]
	v_fma_f64 v[62:63], v[56:57], v[112:113], v[62:63]
	v_mul_f64 v[56:57], v[56:57], v[114:115]
	v_add_f64 v[62:63], v[32:33], -v[62:63]
	v_fma_f64 v[56:57], v[58:59], v[112:113], -v[56:57]
	s_clause 0x1
	global_load_dwordx4 v[108:111], v154, s[8:9] offset:64
	global_load_dwordx4 v[112:115], v154, s[8:9] offset:80
	v_add_f64 v[56:57], v[34:35], -v[56:57]
	s_waitcnt vmcnt(1)
	v_mul_f64 v[58:59], v[54:55], v[110:111]
	v_fma_f64 v[58:59], v[52:53], v[108:109], v[58:59]
	v_mul_f64 v[52:53], v[52:53], v[110:111]
	v_fma_f64 v[52:53], v[54:55], v[108:109], -v[52:53]
	global_load_dwordx4 v[108:111], v154, s[8:9] offset:96
	s_waitcnt vmcnt(1)
	v_mul_f64 v[54:55], v[50:51], v[114:115]
	s_waitcnt vmcnt(0) lgkmcnt(0)
	s_barrier
	buffer_gl0_inv
	v_fma_f64 v[54:55], v[48:49], v[112:113], v[54:55]
	v_mul_f64 v[48:49], v[48:49], v[114:115]
	v_add_f64 v[114:115], v[116:117], -v[140:141]
	v_add_f64 v[140:141], v[132:133], -v[146:147]
	;; [unrolled: 1-line block ×3, first 2 shown]
	v_fma_f64 v[50:51], v[50:51], v[112:113], -v[48:49]
	v_add_f64 v[112:113], v[126:127], -v[152:153]
	v_add_f64 v[154:155], v[146:147], -v[142:143]
	v_fma_f64 v[124:125], v[124:125], 2.0, -v[146:147]
	v_mul_f64 v[48:49], v[46:47], v[110:111]
	v_fma_f64 v[48:49], v[44:45], v[108:109], v[48:49]
	v_mul_f64 v[44:45], v[44:45], v[110:111]
	v_add_f64 v[110:111], v[140:141], v[148:149]
	v_fma_f64 v[44:45], v[46:47], v[108:109], -v[44:45]
	v_add_f64 v[108:109], v[42:43], -v[144:145]
	v_add_f64 v[46:47], v[40:41], -v[122:123]
	;; [unrolled: 1-line block ×3, first 2 shown]
	v_fma_f64 v[122:123], v[40:41], 2.0, -v[46:47]
	v_fma_f64 v[144:145], v[42:43], 2.0, -v[108:109]
	v_add_f64 v[150:151], v[46:47], v[114:115]
	v_fma_f64 v[112:113], v[126:127], 2.0, -v[112:113]
	v_fma_f64 v[114:115], v[116:117], 2.0, -v[114:115]
	;; [unrolled: 1-line block ×4, first 2 shown]
	v_cndmask_b32_e64 v120, 0, 0x50, s1
	v_or_b32_e32 v143, v120, v139
	v_fma_f64 v[42:43], v[154:155], s[6:7], v[152:153]
	v_fma_f64 v[156:157], v[108:109], 2.0, -v[152:153]
	v_fma_f64 v[108:109], v[146:147], 2.0, -v[154:155]
	v_fma_f64 v[40:41], v[110:111], s[6:7], v[150:151]
	v_add_f64 v[120:121], v[122:123], -v[112:113]
	v_add_f64 v[132:133], v[144:145], -v[114:115]
	v_fma_f64 v[46:47], v[46:47], 2.0, -v[150:151]
	v_fma_f64 v[42:43], v[110:111], s[4:5], v[42:43]
	v_fma_f64 v[110:111], v[140:141], 2.0, -v[110:111]
	v_add_f64 v[139:140], v[124:125], -v[116:117]
	v_add_f64 v[141:142], v[126:127], -v[118:119]
	v_fma_f64 v[40:41], v[154:155], s[6:7], v[40:41]
	v_lshlrev_b32_e32 v116, 4, v143
	v_fma_f64 v[158:159], v[108:109], s[4:5], v[156:157]
	v_add3_u32 v143, 0, v116, v137
	v_fma_f64 v[154:155], v[110:111], s[4:5], v[46:47]
	v_add_f64 v[112:113], v[120:121], v[139:140]
	v_add_f64 v[114:115], v[132:133], -v[141:142]
	v_fma_f64 v[110:111], v[110:111], s[4:5], v[158:159]
	v_fma_f64 v[108:109], v[108:109], s[6:7], v[154:155]
	v_fma_f64 v[116:117], v[120:121], 2.0, -v[112:113]
	v_fma_f64 v[118:119], v[132:133], 2.0, -v[114:115]
	ds_write_b128 v143, v[112:115] offset:960
	v_fma_f64 v[112:113], v[150:151], 2.0, -v[40:41]
	v_fma_f64 v[114:115], v[152:153], 2.0, -v[42:43]
	ds_write_b128 v143, v[40:43] offset:1120
	ds_write_b128 v143, v[116:119] offset:320
	;; [unrolled: 1-line block ×3, first 2 shown]
	v_fma_f64 v[112:113], v[122:123], 2.0, -v[120:121]
	v_fma_f64 v[114:115], v[144:145], 2.0, -v[132:133]
	;; [unrolled: 1-line block ×4, first 2 shown]
	v_add_f64 v[120:121], v[68:69], -v[54:55]
	v_add_f64 v[122:123], v[64:65], -v[50:51]
	;; [unrolled: 1-line block ×6, first 2 shown]
	v_fma_f64 v[118:119], v[34:35], 2.0, -v[56:57]
	v_fma_f64 v[58:59], v[96:97], 2.0, -v[82:83]
	;; [unrolled: 1-line block ×4, first 2 shown]
	v_add_f64 v[40:41], v[112:113], -v[40:41]
	v_add_f64 v[42:43], v[114:115], -v[42:43]
	v_add_f64 v[141:142], v[62:63], v[122:123]
	v_fma_f64 v[64:65], v[64:65], 2.0, -v[122:123]
	v_fma_f64 v[60:61], v[60:61], 2.0, -v[132:133]
	v_add_f64 v[34:35], v[126:127], -v[139:140]
	v_fma_f64 v[112:113], v[112:113], 2.0, -v[40:41]
	v_fma_f64 v[114:115], v[114:115], 2.0, -v[42:43]
	ds_write_b128 v143, v[40:43] offset:640
	v_fma_f64 v[40:41], v[46:47], 2.0, -v[108:109]
	v_fma_f64 v[42:43], v[156:157], 2.0, -v[110:111]
	ds_write_b128 v143, v[108:111] offset:800
	ds_write_b128 v143, v[112:115]
	ds_write_b128 v143, v[40:43] offset:160
	v_add_f64 v[40:41], v[36:37], -v[94:95]
	v_add_f64 v[42:43], v[38:39], -v[102:103]
	v_add_f64 v[46:47], v[80:81], v[76:77]
	v_add_f64 v[112:113], v[82:83], -v[72:73]
	v_add_f64 v[143:144], v[56:57], -v[120:121]
	v_fma_f64 v[145:146], v[62:63], 2.0, -v[141:142]
	v_add_f64 v[108:109], v[40:41], v[74:75]
	v_add_f64 v[110:111], v[42:43], -v[84:85]
	v_fma_f64 v[94:95], v[36:37], 2.0, -v[40:41]
	v_fma_f64 v[102:103], v[38:39], 2.0, -v[42:43]
	;; [unrolled: 1-line block ×4, first 2 shown]
	v_fma_f64 v[36:37], v[46:47], s[6:7], v[108:109]
	v_fma_f64 v[114:115], v[40:41], 2.0, -v[108:109]
	v_fma_f64 v[116:117], v[42:43], 2.0, -v[110:111]
	;; [unrolled: 1-line block ×3, first 2 shown]
	v_fma_f64 v[38:39], v[112:113], s[6:7], v[110:111]
	v_fma_f64 v[42:43], v[80:81], 2.0, -v[46:47]
	v_add_f64 v[76:77], v[56:57], -v[54:55]
	v_fma_f64 v[36:37], v[112:113], s[6:7], v[36:37]
	v_fma_f64 v[112:113], v[40:41], s[4:5], v[116:117]
	;; [unrolled: 1-line block ×5, first 2 shown]
	v_fma_f64 v[112:113], v[32:33], 2.0, -v[62:63]
	v_add_f64 v[32:33], v[124:125], v[132:133]
	v_fma_f64 v[40:41], v[40:41], s[6:7], v[46:47]
	v_fma_f64 v[46:47], v[34:35], s[6:7], v[143:144]
	v_mul_lo_u16 v62, 0x50, v104
	v_or_b32_e32 v62, v62, v105
	v_lshlrev_b32_sdwa v80, v106, v62 dst_sel:DWORD dst_unused:UNUSED_PAD src0_sel:DWORD src1_sel:BYTE_0
	v_fma_f64 v[44:45], v[32:33], s[6:7], v[141:142]
	v_fma_f64 v[46:47], v[32:33], s[4:5], v[46:47]
	v_fma_f64 v[32:33], v[124:125], 2.0, -v[32:33]
	v_fma_f64 v[44:45], v[34:35], s[6:7], v[44:45]
	v_fma_f64 v[34:35], v[126:127], 2.0, -v[34:35]
	v_fma_f64 v[48:49], v[32:33], s[4:5], v[145:146]
	v_fma_f64 v[50:51], v[34:35], s[4:5], v[147:148]
	;; [unrolled: 1-line block ×3, first 2 shown]
	v_fma_f64 v[34:35], v[90:91], 2.0, -v[74:75]
	v_add_f64 v[74:75], v[58:59], -v[52:53]
	v_fma_f64 v[50:51], v[32:33], s[4:5], v[50:51]
	v_fma_f64 v[32:33], v[98:99], 2.0, -v[84:85]
	v_add3_u32 v84, 0, v80, v137
	v_add_f64 v[72:73], v[102:103], -v[34:35]
	v_fma_f64 v[88:89], v[145:146], 2.0, -v[48:49]
	v_fma_f64 v[90:91], v[147:148], 2.0, -v[50:51]
	v_add_f64 v[62:63], v[94:95], -v[32:33]
	v_add_f64 v[54:55], v[72:73], -v[76:77]
	v_add_f64 v[52:53], v[62:63], v[74:75]
	v_fma_f64 v[34:35], v[72:73], 2.0, -v[54:55]
	v_fma_f64 v[72:73], v[102:103], 2.0, -v[72:73]
	;; [unrolled: 1-line block ×4, first 2 shown]
	ds_write_b128 v84, v[32:35] offset:320
	v_fma_f64 v[32:33], v[108:109], 2.0, -v[36:37]
	v_fma_f64 v[34:35], v[110:111], 2.0, -v[38:39]
	ds_write_b128 v84, v[32:35] offset:480
	v_fma_f64 v[32:33], v[56:57], 2.0, -v[76:77]
	v_fma_f64 v[34:35], v[58:59], 2.0, -v[74:75]
	;; [unrolled: 1-line block ×4, first 2 shown]
	v_add_f64 v[32:33], v[62:63], -v[32:33]
	v_add_f64 v[34:35], v[72:73], -v[34:35]
	v_fma_f64 v[56:57], v[62:63], 2.0, -v[32:33]
	v_fma_f64 v[58:59], v[72:73], 2.0, -v[34:35]
	ds_write_b128 v84, v[32:35] offset:640
	v_fma_f64 v[32:33], v[78:79], 2.0, -v[124:125]
	v_fma_f64 v[34:35], v[70:71], 2.0, -v[126:127]
	;; [unrolled: 1-line block ×4, first 2 shown]
	v_add_f64 v[70:71], v[118:119], -v[64:65]
	v_fma_f64 v[78:79], v[116:117], 2.0, -v[42:43]
	v_fma_f64 v[72:73], v[141:142], 2.0, -v[44:45]
	v_add_f64 v[60:61], v[34:35], -v[60:61]
	v_add_f64 v[62:63], v[32:33], -v[62:63]
	;; [unrolled: 1-line block ×3, first 2 shown]
	v_fma_f64 v[82:83], v[118:119], 2.0, -v[70:71]
	v_fma_f64 v[34:35], v[34:35], 2.0, -v[60:61]
	;; [unrolled: 1-line block ×4, first 2 shown]
	v_add_f64 v[60:61], v[68:69], v[60:61]
	v_add_f64 v[62:63], v[70:71], -v[62:63]
	v_add_f64 v[66:67], v[82:83], -v[34:35]
	;; [unrolled: 1-line block ×3, first 2 shown]
	v_mov_b32_e32 v32, 0x50
	v_fma_f64 v[68:69], v[68:69], 2.0, -v[60:61]
	v_fma_f64 v[70:71], v[70:71], 2.0, -v[62:63]
	v_mul_u32_u24_sdwa v33, v87, v32 dst_sel:DWORD dst_unused:UNUSED_PAD src0_sel:WORD_0 src1_sel:DWORD
	v_or_b32_sdwa v33, v33, v107 dst_sel:DWORD dst_unused:UNUSED_PAD src0_sel:DWORD src1_sel:BYTE_0
	v_lshlrev_b32_e32 v33, 4, v33
	v_fma_f64 v[82:83], v[82:83], 2.0, -v[66:67]
	v_add3_u32 v33, 0, v33, v137
	v_fma_f64 v[80:81], v[80:81], 2.0, -v[64:65]
	ds_write_b128 v84, v[40:43] offset:800
	ds_write_b128 v84, v[52:55] offset:960
	;; [unrolled: 1-line block ×3, first 2 shown]
	ds_write_b128 v84, v[56:59]
	ds_write_b128 v84, v[76:79] offset:160
	ds_write_b128 v33, v[80:83]
	ds_write_b128 v33, v[88:91] offset:160
	ds_write_b128 v33, v[68:71] offset:320
	;; [unrolled: 1-line block ×7, first 2 shown]
	s_and_saveexec_b32 s1, s0
	s_cbranch_execz .LBB0_21
; %bb.20:
	v_or_b32_e32 v33, 48, v128
	v_mul_lo_u16 v34, v33, 26
	v_lshrrev_b16 v75, 8, v34
	v_mul_lo_u16 v34, v75, 10
	v_mul_u32_u24_sdwa v32, v75, v32 dst_sel:DWORD dst_unused:UNUSED_PAD src0_sel:WORD_0 src1_sel:DWORD
	v_sub_nc_u16 v76, v33, v34
	v_mul_u32_u24_sdwa v33, v76, v86 dst_sel:DWORD dst_unused:UNUSED_PAD src0_sel:BYTE_0 src1_sel:DWORD
	v_or_b32_sdwa v32, v32, v76 dst_sel:DWORD dst_unused:UNUSED_PAD src0_sel:DWORD src1_sel:BYTE_0
	v_lshlrev_b32_e32 v57, 4, v33
	v_lshlrev_b32_e32 v32, 4, v32
	s_clause 0x6
	global_load_dwordx4 v[33:36], v57, s[8:9] offset:48
	global_load_dwordx4 v[37:40], v57, s[8:9] offset:16
	;; [unrolled: 1-line block ×3, first 2 shown]
	global_load_dwordx4 v[45:48], v57, s[8:9]
	global_load_dwordx4 v[49:52], v57, s[8:9] offset:64
	global_load_dwordx4 v[53:56], v57, s[8:9] offset:32
	;; [unrolled: 1-line block ×3, first 2 shown]
	v_add3_u32 v32, 0, v32, v137
	s_waitcnt vmcnt(6)
	v_mul_f64 v[61:62], v[16:17], v[35:36]
	s_waitcnt vmcnt(5)
	v_mul_f64 v[63:64], v[10:11], v[39:40]
	;; [unrolled: 2-line block ×7, first 2 shown]
	v_mul_f64 v[47:48], v[2:3], v[47:48]
	v_mul_f64 v[39:40], v[8:9], v[39:40]
	;; [unrolled: 1-line block ×7, first 2 shown]
	v_fma_f64 v[18:19], v[18:19], v[33:34], -v[61:62]
	v_fma_f64 v[8:9], v[8:9], v[37:38], v[63:64]
	v_fma_f64 v[24:25], v[24:25], v[41:42], v[65:66]
	v_fma_f64 v[2:3], v[2:3], v[45:46], -v[67:68]
	v_fma_f64 v[22:23], v[22:23], v[49:50], -v[69:70]
	v_fma_f64 v[12:13], v[12:13], v[53:54], v[71:72]
	v_fma_f64 v[28:29], v[28:29], v[57:58], v[73:74]
	;; [unrolled: 1-line block ×3, first 2 shown]
	v_fma_f64 v[10:11], v[10:11], v[37:38], -v[39:40]
	v_fma_f64 v[26:27], v[26:27], v[41:42], -v[43:44]
	v_fma_f64 v[20:21], v[20:21], v[49:50], v[51:52]
	v_fma_f64 v[16:17], v[16:17], v[33:34], v[35:36]
	v_fma_f64 v[14:15], v[14:15], v[53:54], -v[55:56]
	v_fma_f64 v[30:31], v[30:31], v[57:58], -v[59:60]
	v_add_f64 v[18:19], v[6:7], -v[18:19]
	v_add_f64 v[24:25], v[8:9], -v[24:25]
	v_add_f64 v[22:23], v[2:3], -v[22:23]
	v_add_f64 v[28:29], v[12:13], -v[28:29]
	v_add_f64 v[26:27], v[10:11], -v[26:27]
	v_add_f64 v[20:21], v[0:1], -v[20:21]
	v_add_f64 v[16:17], v[4:5], -v[16:17]
	v_add_f64 v[30:31], v[14:15], -v[30:31]
	v_fma_f64 v[6:7], v[6:7], 2.0, -v[18:19]
	v_add_f64 v[33:34], v[18:19], -v[24:25]
	v_fma_f64 v[8:9], v[8:9], 2.0, -v[24:25]
	v_fma_f64 v[2:3], v[2:3], 2.0, -v[22:23]
	v_add_f64 v[35:36], v[22:23], -v[28:29]
	v_fma_f64 v[12:13], v[12:13], 2.0, -v[28:29]
	v_fma_f64 v[10:11], v[10:11], 2.0, -v[26:27]
	;; [unrolled: 1-line block ×4, first 2 shown]
	v_add_f64 v[26:27], v[16:17], v[26:27]
	v_fma_f64 v[14:15], v[14:15], 2.0, -v[30:31]
	v_add_f64 v[24:25], v[20:21], v[30:31]
	v_fma_f64 v[30:31], v[18:19], 2.0, -v[33:34]
	v_fma_f64 v[18:19], v[22:23], 2.0, -v[35:36]
	v_add_f64 v[28:29], v[6:7], -v[10:11]
	v_add_f64 v[10:11], v[0:1], -v[12:13]
	;; [unrolled: 1-line block ×3, first 2 shown]
	v_fma_f64 v[39:40], v[16:17], 2.0, -v[26:27]
	v_add_f64 v[12:13], v[2:3], -v[14:15]
	v_fma_f64 v[8:9], v[20:21], 2.0, -v[24:25]
	v_fma_f64 v[14:15], v[35:36], s[6:7], v[33:34]
	v_fma_f64 v[16:17], v[24:25], s[6:7], v[26:27]
	;; [unrolled: 1-line block ×3, first 2 shown]
	v_fma_f64 v[41:42], v[6:7], 2.0, -v[28:29]
	v_fma_f64 v[45:46], v[0:1], 2.0, -v[10:11]
	;; [unrolled: 1-line block ×3, first 2 shown]
	v_add_f64 v[6:7], v[28:29], -v[10:11]
	v_fma_f64 v[22:23], v[2:3], 2.0, -v[12:13]
	v_fma_f64 v[47:48], v[8:9], s[4:5], v[39:40]
	v_add_f64 v[4:5], v[37:38], v[12:13]
	v_fma_f64 v[2:3], v[24:25], s[4:5], v[14:15]
	v_fma_f64 v[0:1], v[35:36], s[6:7], v[16:17]
	;; [unrolled: 1-line block ×3, first 2 shown]
	v_add_f64 v[12:13], v[43:44], -v[45:46]
	v_add_f64 v[14:15], v[41:42], -v[22:23]
	v_fma_f64 v[8:9], v[18:19], s[6:7], v[47:48]
	v_fma_f64 v[22:23], v[28:29], 2.0, -v[6:7]
	v_fma_f64 v[20:21], v[37:38], 2.0, -v[4:5]
	;; [unrolled: 1-line block ×8, first 2 shown]
	ds_write_b128 v32, v[4:7] offset:960
	ds_write_b128 v32, v[20:23] offset:320
	;; [unrolled: 1-line block ×5, first 2 shown]
	ds_write_b128 v32, v[28:31]
	ds_write_b128 v32, v[24:27] offset:160
	ds_write_b128 v32, v[0:3] offset:1120
.LBB0_21:
	s_or_b32 exec_lo, exec_lo, s1
	v_mul_u32_u24_e32 v0, 5, v128
	s_waitcnt lgkmcnt(0)
	s_barrier
	buffer_gl0_inv
	v_lshl_add_u32 v100, v135, 4, v129
	v_lshlrev_b32_e32 v8, 4, v0
	s_mov_b32 s4, 0xe8584caa
	s_mov_b32 s5, 0xbfebb67a
	;; [unrolled: 1-line block ×3, first 2 shown]
	s_clause 0x1
	global_load_dwordx4 v[4:7], v8, s[8:9] offset:1120
	global_load_dwordx4 v[0:3], v8, s[8:9] offset:1136
	v_add_nc_u32_e32 v10, 0x1400, v8
	s_clause 0x4
	global_load_dwordx4 v[48:51], v8, s[8:9] offset:1152
	global_load_dwordx4 v[44:47], v8, s[8:9] offset:1168
	;; [unrolled: 1-line block ×5, first 2 shown]
	v_add_co_u32 v12, s0, s8, v8
	s_clause 0x1
	global_load_dwordx4 v[28:31], v10, s[8:9] offset:1168
	global_load_dwordx4 v[40:43], v10, s[8:9] offset:1152
	v_add_co_ci_u32_e64 v13, null, s9, 0, s0
	v_add_co_u32 v8, s0, 0x500, v12
	v_add_co_ci_u32_e64 v9, s0, 0, v13, s0
	s_clause 0x4
	global_load_dwordx4 v[101:104], v10, s[8:9] offset:1184
	global_load_dwordx4 v[105:108], v[8:9], off offset:1120
	global_load_dwordx4 v[109:112], v[8:9], off offset:1136
	;; [unrolled: 1-line block ×4, first 2 shown]
	v_add_co_u32 v10, s0, 0xa00, v12
	v_add_co_ci_u32_e64 v11, s0, 0, v13, s0
	s_clause 0x4
	global_load_dwordx4 v[117:120], v[8:9], off offset:1184
	global_load_dwordx4 v[96:99], v[10:11], off offset:1120
	;; [unrolled: 1-line block ×5, first 2 shown]
	v_add_co_u32 v8, s0, 0xf00, v12
	v_add_co_ci_u32_e64 v9, s0, 0, v13, s0
	s_clause 0x5
	global_load_dwordx4 v[80:83], v[10:11], off offset:1184
	global_load_dwordx4 v[76:79], v[8:9], off offset:1120
	;; [unrolled: 1-line block ×6, first 2 shown]
	ds_read_b128 v[121:124], v138 offset:1280
	ds_read_b128 v[139:142], v138 offset:3840
	;; [unrolled: 1-line block ×3, first 2 shown]
	ds_read_b128 v[20:23], v136
	ds_read_b128 v[12:15], v138 offset:256
	ds_read_b128 v[147:150], v138 offset:2560
	;; [unrolled: 1-line block ×26, first 2 shown]
	s_mov_b32 s0, s4
	s_waitcnt vmcnt(0) lgkmcnt(0)
	s_barrier
	buffer_gl0_inv
	v_mul_f64 v[135:136], v[141:142], v[50:51]
	v_mul_f64 v[125:126], v[123:124], v[6:7]
	;; [unrolled: 1-line block ×14, first 2 shown]
	v_fma_f64 v[135:136], v[139:140], v[48:49], v[135:136]
	v_fma_f64 v[121:122], v[121:122], v[4:5], v[125:126]
	v_fma_f64 v[4:5], v[123:124], v[4:5], -v[6:7]
	v_mul_f64 v[6:7], v[221:222], v[42:43]
	v_mul_f64 v[42:43], v[219:220], v[42:43]
	;; [unrolled: 1-line block ×4, first 2 shown]
	v_fma_f64 v[125:126], v[147:148], v[0:1], v[132:133]
	v_fma_f64 v[0:1], v[149:150], v[0:1], -v[2:3]
	v_mul_f64 v[2:3], v[233:234], v[103:104]
	v_mul_f64 v[103:104], v[231:232], v[103:104]
	;; [unrolled: 1-line block ×4, first 2 shown]
	v_fma_f64 v[48:49], v[141:142], v[48:49], -v[50:51]
	v_mul_f64 v[50:51], v[153:154], v[111:112]
	v_mul_f64 v[111:112], v[151:152], v[111:112]
	;; [unrolled: 1-line block ×6, first 2 shown]
	v_fma_f64 v[141:142], v[155:156], v[44:45], v[235:236]
	v_fma_f64 v[44:45], v[157:158], v[44:45], -v[46:47]
	v_fma_f64 v[143:144], v[143:144], v[36:37], v[237:238]
	v_fma_f64 v[36:37], v[145:146], v[36:37], -v[38:39]
	v_mul_f64 v[38:39], v[169:170], v[98:99]
	v_mul_f64 v[98:99], v[167:168], v[98:99]
	;; [unrolled: 1-line block ×3, first 2 shown]
	v_fma_f64 v[149:150], v[207:208], v[52:53], v[239:240]
	v_fma_f64 v[52:53], v[209:210], v[52:53], -v[54:55]
	v_mul_f64 v[54:55], v[177:178], v[86:87]
	v_mul_f64 v[86:87], v[175:176], v[86:87]
	;; [unrolled: 1-line block ×4, first 2 shown]
	v_fma_f64 v[157:158], v[211:212], v[32:33], v[241:242]
	v_fma_f64 v[32:33], v[213:214], v[32:33], -v[34:35]
	v_mul_f64 v[34:35], v[185:186], v[82:83]
	v_mul_f64 v[82:83], v[183:184], v[82:83]
	;; [unrolled: 1-line block ×5, first 2 shown]
	v_fma_f64 v[6:7], v[219:220], v[40:41], v[6:7]
	v_fma_f64 v[40:41], v[221:222], v[40:41], -v[42:43]
	v_mul_f64 v[42:43], v[193:194], v[74:75]
	v_mul_f64 v[74:75], v[191:192], v[74:75]
	;; [unrolled: 1-line block ×4, first 2 shown]
	v_fma_f64 v[123:124], v[223:224], v[28:29], v[123:124]
	v_fma_f64 v[28:29], v[225:226], v[28:29], -v[30:31]
	v_mul_f64 v[30:31], v[201:202], v[62:63]
	v_mul_f64 v[62:63], v[199:200], v[62:63]
	;; [unrolled: 1-line block ×6, first 2 shown]
	v_fma_f64 v[2:3], v[231:232], v[101:102], v[2:3]
	v_fma_f64 v[101:102], v[233:234], v[101:102], -v[103:104]
	v_fma_f64 v[103:104], v[163:164], v[105:106], v[132:133]
	v_fma_f64 v[105:106], v[165:166], v[105:106], -v[107:108]
	;; [unrolled: 2-line block ×4, first 2 shown]
	v_fma_f64 v[113:114], v[181:182], v[117:118], -v[119:120]
	v_fma_f64 v[38:39], v[167:168], v[96:97], v[38:39]
	v_fma_f64 v[96:97], v[169:170], v[96:97], -v[98:99]
	v_fma_f64 v[98:99], v[187:188], v[88:89], v[145:146]
	v_fma_f64 v[54:55], v[175:176], v[84:85], v[54:55]
	v_fma_f64 v[84:85], v[177:178], v[84:85], -v[86:87]
	v_fma_f64 v[86:87], v[195:196], v[68:69], v[155:156]
	v_fma_f64 v[68:69], v[197:198], v[68:69], -v[70:71]
	v_fma_f64 v[70:71], v[185:186], v[80:81], -v[82:83]
	;; [unrolled: 1-line block ×3, first 2 shown]
	v_fma_f64 v[34:35], v[183:184], v[80:81], v[34:35]
	v_fma_f64 v[80:81], v[203:204], v[76:77], v[207:208]
	v_fma_f64 v[76:77], v[205:206], v[76:77], -v[78:79]
	v_fma_f64 v[42:43], v[191:192], v[72:73], v[42:43]
	v_fma_f64 v[72:73], v[193:194], v[72:73], -v[74:75]
	;; [unrolled: 2-line block ×6, first 2 shown]
	v_fma_f64 v[94:95], v[179:180], v[117:118], v[147:148]
	v_add_f64 v[58:59], v[20:21], v[125:126]
	v_add_f64 v[66:67], v[125:126], v[141:142]
	v_add_f64 v[90:91], v[125:126], -v[141:142]
	v_add_f64 v[117:118], v[135:136], v[143:144]
	v_add_f64 v[119:120], v[48:49], -v[36:37]
	v_add_f64 v[125:126], v[4:5], v[48:49]
	v_add_f64 v[48:49], v[48:49], v[36:37]
	v_add_f64 v[78:79], v[0:1], -v[44:45]
	v_add_f64 v[82:83], v[22:23], v[0:1]
	v_add_f64 v[0:1], v[0:1], v[44:45]
	;; [unrolled: 1-line block ×3, first 2 shown]
	v_add_f64 v[132:133], v[135:136], -v[143:144]
	v_add_f64 v[135:136], v[24:25], v[157:158]
	v_add_f64 v[139:140], v[157:158], v[123:124]
	v_add_f64 v[151:152], v[157:158], -v[123:124]
	v_add_f64 v[157:158], v[40:41], -v[101:102]
	v_add_f64 v[159:160], v[52:53], v[40:41]
	v_add_f64 v[40:41], v[40:41], v[101:102]
	v_add_f64 v[145:146], v[32:33], -v[28:29]
	v_add_f64 v[147:148], v[26:27], v[32:33]
	v_add_f64 v[32:33], v[32:33], v[28:29]
	v_add_f64 v[153:154], v[149:150], v[6:7]
	v_add_f64 v[173:174], v[111:112], -v[113:114]
	v_add_f64 v[175:176], v[105:106], v[111:112]
	;; [unrolled: 4-line block ×3, first 2 shown]
	v_add_f64 v[167:168], v[14:15], v[107:108]
	v_add_f64 v[169:170], v[103:104], v[109:110]
	v_add_f64 v[179:180], v[98:99], v[86:87]
	v_add_f64 v[189:190], v[84:85], -v[70:71]
	v_add_f64 v[191:192], v[96:97], v[84:85]
	v_add_f64 v[84:85], v[84:85], v[70:71]
	v_add_f64 v[183:184], v[18:19], v[88:89]
	v_add_f64 v[205:206], v[64:65], -v[56:57]
	v_add_f64 v[207:208], v[76:77], v[64:65]
	v_add_f64 v[64:65], v[64:65], v[56:57]
	v_add_f64 v[177:178], v[16:17], v[98:99]
	v_add_f64 v[181:182], v[88:89], -v[68:69]
	v_add_f64 v[88:89], v[88:89], v[68:69]
	v_add_f64 v[185:186], v[38:39], v[54:55]
	v_add_f64 v[187:188], v[54:55], v[34:35]
	v_add_f64 v[193:194], v[8:9], v[42:43]
	v_add_f64 v[199:200], v[10:11], v[72:73]
	v_add_f64 v[201:202], v[80:81], v[74:75]
	v_fma_f64 v[20:21], v[66:67], -0.5, v[20:21]
	v_fma_f64 v[66:67], v[117:118], -0.5, v[121:122]
	;; [unrolled: 1-line block ×3, first 2 shown]
	v_add_f64 v[195:196], v[42:43], v[30:31]
	v_add_f64 v[197:198], v[72:73], -v[60:61]
	v_add_f64 v[72:73], v[72:73], v[60:61]
	v_add_f64 v[58:59], v[58:59], v[141:142]
	;; [unrolled: 1-line block ×3, first 2 shown]
	v_fma_f64 v[0:1], v[0:1], -0.5, v[22:23]
	v_add_f64 v[22:23], v[115:116], v[143:144]
	v_add_f64 v[36:37], v[125:126], v[36:37]
	v_fma_f64 v[40:41], v[40:41], -0.5, v[52:53]
	v_add_f64 v[165:166], v[107:108], -v[92:93]
	v_add_f64 v[107:108], v[107:108], v[92:93]
	v_add_f64 v[171:172], v[109:110], v[94:95]
	v_add_f64 v[109:110], v[109:110], -v[94:95]
	v_add_f64 v[48:49], v[135:136], v[123:124]
	v_add_f64 v[28:29], v[147:148], v[28:29]
	v_fma_f64 v[26:27], v[32:33], -0.5, v[26:27]
	v_add_f64 v[32:33], v[153:154], v[2:3]
	v_add_f64 v[101:102], v[159:160], v[101:102]
	v_fma_f64 v[105:106], v[111:112], -0.5, v[105:106]
	v_add_f64 v[163:164], v[50:51], v[46:47]
	v_add_f64 v[50:51], v[50:51], -v[46:47]
	v_add_f64 v[54:55], v[54:55], -v[34:35]
	v_add_f64 v[203:204], v[74:75], v[62:63]
	v_add_f64 v[46:47], v[6:7], v[46:47]
	;; [unrolled: 1-line block ×5, first 2 shown]
	v_fma_f64 v[111:112], v[179:180], -0.5, v[16:17]
	v_fma_f64 v[84:85], v[84:85], -0.5, v[96:97]
	v_add_f64 v[74:75], v[74:75], -v[62:63]
	v_add_f64 v[68:69], v[183:184], v[68:69]
	v_add_f64 v[70:71], v[191:192], v[70:71]
	v_fma_f64 v[64:65], v[64:65], -0.5, v[76:77]
	v_add_f64 v[98:99], v[98:99], -v[86:87]
	v_fma_f64 v[24:25], v[139:140], -0.5, v[24:25]
	v_add_f64 v[86:87], v[177:178], v[86:87]
	v_fma_f64 v[88:89], v[88:89], -0.5, v[18:19]
	v_add_f64 v[34:35], v[185:186], v[34:35]
	;; [unrolled: 2-line block ×3, first 2 shown]
	v_add_f64 v[60:61], v[199:200], v[60:61]
	v_add_f64 v[62:63], v[201:202], v[62:63]
	;; [unrolled: 1-line block ×3, first 2 shown]
	v_fma_f64 v[121:122], v[119:120], s[4:5], v[66:67]
	v_fma_f64 v[66:67], v[119:120], s[0:1], v[66:67]
	;; [unrolled: 1-line block ×3, first 2 shown]
	v_add_f64 v[42:43], v[42:43], -v[30:31]
	v_fma_f64 v[115:116], v[195:196], -0.5, v[8:9]
	v_fma_f64 v[72:73], v[72:73], -0.5, v[10:11]
	v_fma_f64 v[123:124], v[132:133], s[4:5], v[4:5]
	v_fma_f64 v[82:83], v[155:156], -0.5, v[149:150]
	v_fma_f64 v[117:118], v[90:91], s[0:1], v[0:1]
	v_fma_f64 v[90:91], v[90:91], s[4:5], v[0:1]
	v_add_f64 v[0:1], v[58:59], v[22:23]
	v_add_f64 v[2:3], v[44:45], v[36:37]
	v_fma_f64 v[139:140], v[161:162], s[0:1], v[40:41]
	v_add_f64 v[4:5], v[58:59], -v[22:23]
	v_add_f64 v[6:7], v[44:45], -v[36:37]
	v_fma_f64 v[40:41], v[161:162], s[4:5], v[40:41]
	v_fma_f64 v[107:108], v[107:108], -0.5, v[14:15]
	v_fma_f64 v[103:104], v[171:172], -0.5, v[103:104]
	v_add_f64 v[8:9], v[48:49], v[32:33]
	v_add_f64 v[10:11], v[28:29], v[101:102]
	v_fma_f64 v[141:142], v[109:110], s[0:1], v[105:106]
	v_fma_f64 v[52:53], v[163:164], -0.5, v[12:13]
	v_add_f64 v[12:13], v[48:49], -v[32:33]
	v_add_f64 v[14:15], v[28:29], -v[101:102]
	v_fma_f64 v[105:106], v[109:110], s[4:5], v[105:106]
	v_fma_f64 v[80:81], v[203:204], -0.5, v[80:81]
	v_fma_f64 v[76:77], v[78:79], s[4:5], v[20:21]
	v_fma_f64 v[78:79], v[78:79], s[0:1], v[20:21]
	v_add_f64 v[16:17], v[46:47], v[94:95]
	v_add_f64 v[18:19], v[92:93], v[113:114]
	v_add_f64 v[20:21], v[46:47], -v[94:95]
	v_add_f64 v[22:23], v[92:93], -v[113:114]
	v_fma_f64 v[92:93], v[181:182], s[4:5], v[111:112]
	v_fma_f64 v[94:95], v[181:182], s[0:1], v[111:112]
	;; [unrolled: 1-line block ×6, first 2 shown]
	v_add_f64 v[26:27], v[68:69], v[70:71]
	v_add_f64 v[30:31], v[68:69], -v[70:71]
	v_fma_f64 v[70:71], v[74:75], s[0:1], v[64:65]
	v_fma_f64 v[64:65], v[74:75], s[4:5], v[64:65]
	v_fma_f64 v[44:45], v[145:146], s[4:5], v[24:25]
	v_fma_f64 v[58:59], v[145:146], s[0:1], v[24:25]
	v_fma_f64 v[109:110], v[98:99], s[0:1], v[88:89]
	v_fma_f64 v[88:89], v[98:99], s[4:5], v[88:89]
	v_fma_f64 v[46:47], v[189:190], s[4:5], v[38:39]
	v_fma_f64 v[98:99], v[189:190], s[0:1], v[38:39]
	v_add_f64 v[24:25], v[86:87], v[34:35]
	v_add_f64 v[28:29], v[86:87], -v[34:35]
	v_add_f64 v[32:33], v[96:97], v[62:63]
	v_add_f64 v[34:35], v[60:61], v[56:57]
	v_add_f64 v[36:37], v[96:97], -v[62:63]
	v_add_f64 v[38:39], v[60:61], -v[56:57]
	v_mul_f64 v[56:57], v[119:120], s[4:5]
	v_mul_f64 v[62:63], v[119:120], 0.5
	v_fma_f64 v[84:85], v[197:198], s[4:5], v[115:116]
	v_fma_f64 v[86:87], v[197:198], s[0:1], v[115:116]
	;; [unrolled: 1-line block ×4, first 2 shown]
	v_mul_f64 v[60:61], v[123:124], s[4:5]
	v_mul_f64 v[72:73], v[123:124], -0.5
	v_fma_f64 v[135:136], v[157:158], s[4:5], v[82:83]
	ds_write_b128 v138, v[0:3]
	ds_write_b128 v138, v[4:7] offset:3840
	v_mul_f64 v[0:1], v[139:140], s[4:5]
	v_mul_f64 v[4:5], v[139:140], 0.5
	v_fma_f64 v[82:83], v[157:158], s[0:1], v[82:83]
	v_mul_f64 v[2:3], v[40:41], s[4:5]
	v_mul_f64 v[6:7], v[40:41], -0.5
	v_fma_f64 v[101:102], v[50:51], s[0:1], v[107:108]
	v_fma_f64 v[107:108], v[50:51], s[4:5], v[107:108]
	;; [unrolled: 1-line block ×3, first 2 shown]
	ds_write_b128 v138, v[8:11] offset:1024
	ds_write_b128 v100, v[12:15] offset:4864
	v_mul_f64 v[8:9], v[141:142], s[4:5]
	v_mul_f64 v[12:13], v[141:142], 0.5
	v_fma_f64 v[103:104], v[173:174], s[0:1], v[103:104]
	v_mul_f64 v[10:11], v[105:106], s[4:5]
	v_mul_f64 v[14:15], v[105:106], -0.5
	v_fma_f64 v[42:43], v[205:206], s[4:5], v[80:81]
	v_fma_f64 v[68:69], v[205:206], s[0:1], v[80:81]
	v_mul_f64 v[40:41], v[111:112], s[4:5]
	v_mul_f64 v[80:81], v[111:112], 0.5
	v_mul_f64 v[74:75], v[54:55], s[4:5]
	v_mul_f64 v[54:55], v[54:55], -0.5
	v_mul_f64 v[96:97], v[70:71], s[4:5]
	v_mul_f64 v[70:71], v[70:71], 0.5
	v_mul_f64 v[105:106], v[64:65], s[4:5]
	v_mul_f64 v[64:65], v[64:65], -0.5
	ds_write_b128 v138, v[16:19] offset:256
	ds_write_b128 v100, v[20:23] offset:4096
	v_fma_f64 v[16:17], v[121:122], 0.5, v[56:57]
	v_fma_f64 v[20:21], v[121:122], s[0:1], v[62:63]
	v_fma_f64 v[18:19], v[66:67], -0.5, v[60:61]
	v_fma_f64 v[22:23], v[66:67], s[0:1], v[72:73]
	ds_write_b128 v138, v[24:27] offset:512
	ds_write_b128 v100, v[28:31] offset:4352
	v_fma_f64 v[24:25], v[135:136], 0.5, v[0:1]
	v_fma_f64 v[30:31], v[135:136], s[0:1], v[4:5]
	v_fma_f64 v[26:27], v[82:83], -0.5, v[2:3]
	v_fma_f64 v[56:57], v[82:83], s[0:1], v[6:7]
	v_fma_f64 v[48:49], v[165:166], s[4:5], v[52:53]
	v_fma_f64 v[60:61], v[50:51], 0.5, v[8:9]
	v_fma_f64 v[50:51], v[50:51], s[0:1], v[12:13]
	v_fma_f64 v[52:53], v[165:166], s[0:1], v[52:53]
	v_fma_f64 v[62:63], v[103:104], -0.5, v[10:11]
	v_fma_f64 v[66:67], v[103:104], s[0:1], v[14:15]
	v_fma_f64 v[72:73], v[46:47], 0.5, v[40:41]
	v_fma_f64 v[80:81], v[46:47], s[0:1], v[80:81]
	v_fma_f64 v[74:75], v[98:99], -0.5, v[74:75]
	v_fma_f64 v[82:83], v[98:99], s[0:1], v[54:55]
	v_fma_f64 v[96:97], v[42:43], 0.5, v[96:97]
	v_fma_f64 v[103:104], v[42:43], s[0:1], v[70:71]
	v_fma_f64 v[98:99], v[68:69], -0.5, v[105:106]
	v_fma_f64 v[105:106], v[68:69], s[0:1], v[64:65]
	v_add_f64 v[0:1], v[76:77], v[16:17]
	v_add_f64 v[2:3], v[117:118], v[20:21]
	v_add_f64 v[4:5], v[78:79], v[18:19]
	v_add_f64 v[6:7], v[90:91], v[22:23]
	v_add_f64 v[8:9], v[76:77], -v[16:17]
	v_add_f64 v[10:11], v[117:118], -v[20:21]
	v_add_f64 v[12:13], v[78:79], -v[18:19]
	v_add_f64 v[14:15], v[90:91], -v[22:23]
	v_add_f64 v[16:17], v[44:45], v[24:25]
	v_add_f64 v[18:19], v[125:126], v[30:31]
	v_add_f64 v[20:21], v[58:59], v[26:27]
	v_add_f64 v[22:23], v[132:133], v[56:57]
	v_add_f64 v[24:25], v[44:45], -v[24:25]
	v_add_f64 v[28:29], v[58:59], -v[26:27]
	v_add_f64 v[26:27], v[125:126], -v[30:31]
	v_add_f64 v[30:31], v[132:133], -v[56:57]
	;; [unrolled: 8-line block ×5, first 2 shown]
	ds_write_b128 v138, v[32:35] offset:768
	ds_write_b128 v100, v[36:39] offset:4608
	ds_write_b128 v138, v[0:3] offset:1280
	ds_write_b128 v138, v[4:7] offset:2560
	ds_write_b128 v138, v[8:11] offset:5120
	ds_write_b128 v138, v[12:15] offset:6400
	ds_write_b128 v100, v[16:19] offset:2304
	ds_write_b128 v100, v[20:23] offset:3584
	ds_write_b128 v100, v[24:27] offset:6144
	ds_write_b128 v100, v[28:31] offset:7424
	ds_write_b128 v100, v[40:43] offset:1536
	ds_write_b128 v100, v[44:47] offset:2816
	ds_write_b128 v100, v[48:51] offset:5376
	ds_write_b128 v100, v[52:55] offset:6656
	ds_write_b128 v100, v[56:59] offset:1792
	ds_write_b128 v100, v[60:63] offset:3072
	ds_write_b128 v100, v[64:67] offset:5632
	ds_write_b128 v100, v[68:71] offset:6912
	ds_write_b128 v100, v[72:75] offset:2048
	ds_write_b128 v100, v[76:79] offset:3328
	ds_write_b128 v100, v[80:83] offset:5888
	ds_write_b128 v100, v[84:87] offset:7168
	s_waitcnt lgkmcnt(0)
	s_barrier
	buffer_gl0_inv
	s_and_saveexec_b32 s0, vcc_lo
	s_cbranch_execz .LBB0_23
; %bb.22:
	v_mov_b32_e32 v129, 0
	v_lshl_add_u32 v30, v128, 4, v134
	v_add_nc_u32_e32 v8, 16, v128
	v_add_co_u32 v31, vcc_lo, s2, v130
	v_mov_b32_e32 v9, v129
	v_lshlrev_b64 v[12:13], 4, v[128:129]
	v_add_co_ci_u32_e32 v32, vcc_lo, s3, v131, vcc_lo
	ds_read_b128 v[0:3], v30
	ds_read_b128 v[4:7], v30 offset:256
	v_add_nc_u32_e32 v16, 32, v128
	v_mov_b32_e32 v17, v129
	v_lshlrev_b64 v[14:15], 4, v[8:9]
	ds_read_b128 v[8:11], v30 offset:512
	v_add_co_u32 v20, vcc_lo, v31, v12
	v_add_co_ci_u32_e32 v21, vcc_lo, v32, v13, vcc_lo
	v_lshlrev_b64 v[12:13], 4, v[16:17]
	v_add_co_u32 v22, vcc_lo, v31, v14
	v_add_co_ci_u32_e32 v23, vcc_lo, v32, v15, vcc_lo
	v_add_nc_u32_e32 v26, 48, v128
	v_add_co_u32 v24, vcc_lo, v31, v12
	v_mov_b32_e32 v27, v129
	v_add_co_ci_u32_e32 v25, vcc_lo, v32, v13, vcc_lo
	ds_read_b128 v[12:15], v30 offset:768
	ds_read_b128 v[16:19], v30 offset:1024
	v_add_nc_u32_e32 v28, 64, v128
	v_mov_b32_e32 v29, v129
	v_lshlrev_b64 v[26:27], 4, v[26:27]
	s_waitcnt lgkmcnt(4)
	global_store_dwordx4 v[20:21], v[0:3], off
	s_waitcnt lgkmcnt(3)
	global_store_dwordx4 v[22:23], v[4:7], off
	;; [unrolled: 2-line block ×3, first 2 shown]
	v_add_nc_u32_e32 v6, 0x50, v128
	v_mov_b32_e32 v7, v129
	v_lshlrev_b64 v[0:1], 4, v[28:29]
	v_add_nc_u32_e32 v8, 0x60, v128
	v_add_co_u32 v2, vcc_lo, v31, v26
	v_add_co_ci_u32_e32 v3, vcc_lo, v32, v27, vcc_lo
	v_add_co_u32 v4, vcc_lo, v31, v0
	v_add_co_ci_u32_e32 v5, vcc_lo, v32, v1, vcc_lo
	v_mov_b32_e32 v9, v129
	v_add_nc_u32_e32 v24, 0x80, v128
	s_waitcnt lgkmcnt(1)
	global_store_dwordx4 v[2:3], v[12:15], off
	s_waitcnt lgkmcnt(0)
	global_store_dwordx4 v[4:5], v[16:19], off
	v_lshlrev_b64 v[12:13], 4, v[6:7]
	ds_read_b128 v[0:3], v30 offset:1280
	v_lshlrev_b64 v[14:15], 4, v[8:9]
	v_add_nc_u32_e32 v16, 0x70, v128
	v_mov_b32_e32 v17, v129
	ds_read_b128 v[4:7], v30 offset:1536
	ds_read_b128 v[8:11], v30 offset:1792
	v_add_co_u32 v20, vcc_lo, v31, v12
	v_add_co_ci_u32_e32 v21, vcc_lo, v32, v13, vcc_lo
	v_lshlrev_b64 v[16:17], 4, v[16:17]
	v_add_co_u32 v22, vcc_lo, v31, v14
	v_add_co_ci_u32_e32 v23, vcc_lo, v32, v15, vcc_lo
	ds_read_b128 v[12:15], v30 offset:2048
	v_add_co_u32 v26, vcc_lo, v31, v16
	v_mov_b32_e32 v25, v129
	v_add_co_ci_u32_e32 v27, vcc_lo, v32, v17, vcc_lo
	ds_read_b128 v[16:19], v30 offset:2304
	v_add_nc_u32_e32 v28, 0x90, v128
	v_lshlrev_b64 v[24:25], 4, v[24:25]
	s_waitcnt lgkmcnt(4)
	global_store_dwordx4 v[20:21], v[0:3], off
	s_waitcnt lgkmcnt(3)
	global_store_dwordx4 v[22:23], v[4:7], off
	;; [unrolled: 2-line block ×3, first 2 shown]
	v_add_nc_u32_e32 v4, 0xa0, v128
	v_lshlrev_b64 v[0:1], 4, v[28:29]
	v_mov_b32_e32 v5, v129
	v_add_co_u32 v2, vcc_lo, v31, v24
	v_add_co_ci_u32_e32 v3, vcc_lo, v32, v25, vcc_lo
	v_add_co_u32 v0, vcc_lo, v31, v0
	v_add_co_ci_u32_e32 v1, vcc_lo, v32, v1, vcc_lo
	s_waitcnt lgkmcnt(1)
	global_store_dwordx4 v[2:3], v[12:15], off
	v_add_nc_u32_e32 v8, 0xb0, v128
	v_mov_b32_e32 v9, v129
	v_lshlrev_b64 v[12:13], 4, v[4:5]
	s_waitcnt lgkmcnt(0)
	global_store_dwordx4 v[0:1], v[16:19], off
	ds_read_b128 v[0:3], v30 offset:2560
	ds_read_b128 v[4:7], v30 offset:2816
	v_add_nc_u32_e32 v16, 0xc0, v128
	v_mov_b32_e32 v17, v129
	v_lshlrev_b64 v[14:15], 4, v[8:9]
	ds_read_b128 v[8:11], v30 offset:3072
	v_add_co_u32 v20, vcc_lo, v31, v12
	v_add_co_ci_u32_e32 v21, vcc_lo, v32, v13, vcc_lo
	v_lshlrev_b64 v[12:13], 4, v[16:17]
	v_add_co_u32 v22, vcc_lo, v31, v14
	v_add_co_ci_u32_e32 v23, vcc_lo, v32, v15, vcc_lo
	v_add_nc_u32_e32 v26, 0xd0, v128
	v_add_co_u32 v24, vcc_lo, v31, v12
	v_mov_b32_e32 v27, v129
	v_add_co_ci_u32_e32 v25, vcc_lo, v32, v13, vcc_lo
	ds_read_b128 v[12:15], v30 offset:3328
	ds_read_b128 v[16:19], v30 offset:3584
	v_add_nc_u32_e32 v28, 0xe0, v128
	v_lshlrev_b64 v[26:27], 4, v[26:27]
	s_waitcnt lgkmcnt(4)
	global_store_dwordx4 v[20:21], v[0:3], off
	s_waitcnt lgkmcnt(3)
	global_store_dwordx4 v[22:23], v[4:7], off
	;; [unrolled: 2-line block ×3, first 2 shown]
	v_add_nc_u32_e32 v6, 0xf0, v128
	v_mov_b32_e32 v7, v129
	v_lshlrev_b64 v[0:1], 4, v[28:29]
	v_add_nc_u32_e32 v8, 0x100, v128
	v_add_co_u32 v2, vcc_lo, v31, v26
	v_add_co_ci_u32_e32 v3, vcc_lo, v32, v27, vcc_lo
	v_add_co_u32 v4, vcc_lo, v31, v0
	v_add_co_ci_u32_e32 v5, vcc_lo, v32, v1, vcc_lo
	v_mov_b32_e32 v9, v129
	v_add_nc_u32_e32 v24, 0x120, v128
	v_mov_b32_e32 v25, v129
	s_waitcnt lgkmcnt(1)
	global_store_dwordx4 v[2:3], v[12:15], off
	s_waitcnt lgkmcnt(0)
	global_store_dwordx4 v[4:5], v[16:19], off
	v_lshlrev_b64 v[12:13], 4, v[6:7]
	ds_read_b128 v[0:3], v30 offset:3840
	v_lshlrev_b64 v[14:15], 4, v[8:9]
	v_add_nc_u32_e32 v16, 0x110, v128
	v_mov_b32_e32 v17, v129
	ds_read_b128 v[4:7], v30 offset:4096
	ds_read_b128 v[8:11], v30 offset:4352
	v_add_co_u32 v20, vcc_lo, v31, v12
	v_add_co_ci_u32_e32 v21, vcc_lo, v32, v13, vcc_lo
	v_lshlrev_b64 v[16:17], 4, v[16:17]
	v_add_co_u32 v22, vcc_lo, v31, v14
	v_add_co_ci_u32_e32 v23, vcc_lo, v32, v15, vcc_lo
	ds_read_b128 v[12:15], v30 offset:4608
	v_add_co_u32 v26, vcc_lo, v31, v16
	v_add_co_ci_u32_e32 v27, vcc_lo, v32, v17, vcc_lo
	ds_read_b128 v[16:19], v30 offset:4864
	v_add_nc_u32_e32 v28, 0x130, v128
	v_lshlrev_b64 v[24:25], 4, v[24:25]
	s_waitcnt lgkmcnt(4)
	global_store_dwordx4 v[20:21], v[0:3], off
	s_waitcnt lgkmcnt(3)
	global_store_dwordx4 v[22:23], v[4:7], off
	;; [unrolled: 2-line block ×3, first 2 shown]
	v_lshlrev_b64 v[0:1], 4, v[28:29]
	v_add_nc_u32_e32 v4, 0x140, v128
	v_add_co_u32 v2, vcc_lo, v31, v24
	v_add_co_ci_u32_e32 v3, vcc_lo, v32, v25, vcc_lo
	v_add_co_u32 v0, vcc_lo, v31, v0
	v_add_co_ci_u32_e32 v1, vcc_lo, v32, v1, vcc_lo
	v_mov_b32_e32 v5, v129
	v_add_nc_u32_e32 v8, 0x150, v128
	v_mov_b32_e32 v9, v129
	s_waitcnt lgkmcnt(1)
	global_store_dwordx4 v[2:3], v[12:15], off
	s_waitcnt lgkmcnt(0)
	global_store_dwordx4 v[0:1], v[16:19], off
	v_lshlrev_b64 v[12:13], 4, v[4:5]
	ds_read_b128 v[0:3], v30 offset:5120
	ds_read_b128 v[4:7], v30 offset:5376
	v_lshlrev_b64 v[14:15], 4, v[8:9]
	ds_read_b128 v[8:11], v30 offset:5632
	v_add_nc_u32_e32 v16, 0x160, v128
	v_mov_b32_e32 v17, v129
	v_add_co_u32 v20, vcc_lo, v31, v12
	v_add_co_ci_u32_e32 v21, vcc_lo, v32, v13, vcc_lo
	v_lshlrev_b64 v[12:13], 4, v[16:17]
	v_add_nc_u32_e32 v16, 0x170, v128
	v_add_co_u32 v22, vcc_lo, v31, v14
	v_add_co_ci_u32_e32 v23, vcc_lo, v32, v15, vcc_lo
	v_lshlrev_b64 v[26:27], 4, v[16:17]
	ds_read_b128 v[16:19], v30 offset:6144
	v_add_co_u32 v24, vcc_lo, v31, v12
	v_add_nc_u32_e32 v28, 0x180, v128
	v_add_co_ci_u32_e32 v25, vcc_lo, v32, v13, vcc_lo
	ds_read_b128 v[12:15], v30 offset:5888
	s_waitcnt lgkmcnt(4)
	global_store_dwordx4 v[20:21], v[0:3], off
	s_waitcnt lgkmcnt(3)
	global_store_dwordx4 v[22:23], v[4:7], off
	;; [unrolled: 2-line block ×3, first 2 shown]
	v_lshlrev_b64 v[0:1], 4, v[28:29]
	v_add_co_u32 v2, vcc_lo, v31, v26
	v_add_co_ci_u32_e32 v3, vcc_lo, v32, v27, vcc_lo
	v_add_nc_u32_e32 v4, 0x190, v128
	v_mov_b32_e32 v5, v129
	v_add_co_u32 v6, vcc_lo, v31, v0
	v_add_co_ci_u32_e32 v7, vcc_lo, v32, v1, vcc_lo
	v_add_nc_u32_e32 v8, 0x1a0, v128
	v_mov_b32_e32 v9, v129
	v_lshlrev_b64 v[4:5], 4, v[4:5]
	s_waitcnt lgkmcnt(1)
	global_store_dwordx4 v[6:7], v[16:19], off
	v_add_nc_u32_e32 v24, 0x1c0, v128
	v_mov_b32_e32 v25, v129
	v_lshlrev_b64 v[6:7], 4, v[8:9]
	s_waitcnt lgkmcnt(0)
	global_store_dwordx4 v[2:3], v[12:15], off
	v_add_co_u32 v20, vcc_lo, v31, v4
	v_add_nc_u32_e32 v12, 0x1b0, v128
	v_mov_b32_e32 v13, v129
	v_add_co_ci_u32_e32 v21, vcc_lo, v32, v5, vcc_lo
	v_add_co_u32 v22, vcc_lo, v31, v6
	ds_read_b128 v[0:3], v30 offset:6400
	v_add_co_ci_u32_e32 v23, vcc_lo, v32, v7, vcc_lo
	ds_read_b128 v[4:7], v30 offset:6656
	ds_read_b128 v[8:11], v30 offset:6912
	v_lshlrev_b64 v[26:27], 4, v[12:13]
	ds_read_b128 v[12:15], v30 offset:7168
	ds_read_b128 v[16:19], v30 offset:7424
	v_add_nc_u32_e32 v128, 0x1d0, v128
	v_lshlrev_b64 v[24:25], 4, v[24:25]
	v_add_co_u32 v26, vcc_lo, v31, v26
	v_lshlrev_b64 v[28:29], 4, v[128:129]
	v_add_co_ci_u32_e32 v27, vcc_lo, v32, v27, vcc_lo
	v_add_co_u32 v24, vcc_lo, v31, v24
	v_add_co_ci_u32_e32 v25, vcc_lo, v32, v25, vcc_lo
	v_add_co_u32 v28, vcc_lo, v31, v28
	v_add_co_ci_u32_e32 v29, vcc_lo, v32, v29, vcc_lo
	s_waitcnt lgkmcnt(4)
	global_store_dwordx4 v[20:21], v[0:3], off
	s_waitcnt lgkmcnt(3)
	global_store_dwordx4 v[22:23], v[4:7], off
	;; [unrolled: 2-line block ×5, first 2 shown]
.LBB0_23:
	s_endpgm
	.section	.rodata,"a",@progbits
	.p2align	6, 0x0
	.amdhsa_kernel fft_rtc_back_len480_factors_10_8_6_wgs_64_tpt_16_halfLds_dp_ip_CI_unitstride_sbrr_C2R_dirReg
		.amdhsa_group_segment_fixed_size 0
		.amdhsa_private_segment_fixed_size 0
		.amdhsa_kernarg_size 88
		.amdhsa_user_sgpr_count 6
		.amdhsa_user_sgpr_private_segment_buffer 1
		.amdhsa_user_sgpr_dispatch_ptr 0
		.amdhsa_user_sgpr_queue_ptr 0
		.amdhsa_user_sgpr_kernarg_segment_ptr 1
		.amdhsa_user_sgpr_dispatch_id 0
		.amdhsa_user_sgpr_flat_scratch_init 0
		.amdhsa_user_sgpr_private_segment_size 0
		.amdhsa_wavefront_size32 1
		.amdhsa_uses_dynamic_stack 0
		.amdhsa_system_sgpr_private_segment_wavefront_offset 0
		.amdhsa_system_sgpr_workgroup_id_x 1
		.amdhsa_system_sgpr_workgroup_id_y 0
		.amdhsa_system_sgpr_workgroup_id_z 0
		.amdhsa_system_sgpr_workgroup_info 0
		.amdhsa_system_vgpr_workitem_id 0
		.amdhsa_next_free_vgpr 254
		.amdhsa_next_free_sgpr 21
		.amdhsa_reserve_vcc 1
		.amdhsa_reserve_flat_scratch 0
		.amdhsa_float_round_mode_32 0
		.amdhsa_float_round_mode_16_64 0
		.amdhsa_float_denorm_mode_32 3
		.amdhsa_float_denorm_mode_16_64 3
		.amdhsa_dx10_clamp 1
		.amdhsa_ieee_mode 1
		.amdhsa_fp16_overflow 0
		.amdhsa_workgroup_processor_mode 1
		.amdhsa_memory_ordered 1
		.amdhsa_forward_progress 0
		.amdhsa_shared_vgpr_count 0
		.amdhsa_exception_fp_ieee_invalid_op 0
		.amdhsa_exception_fp_denorm_src 0
		.amdhsa_exception_fp_ieee_div_zero 0
		.amdhsa_exception_fp_ieee_overflow 0
		.amdhsa_exception_fp_ieee_underflow 0
		.amdhsa_exception_fp_ieee_inexact 0
		.amdhsa_exception_int_div_zero 0
	.end_amdhsa_kernel
	.text
.Lfunc_end0:
	.size	fft_rtc_back_len480_factors_10_8_6_wgs_64_tpt_16_halfLds_dp_ip_CI_unitstride_sbrr_C2R_dirReg, .Lfunc_end0-fft_rtc_back_len480_factors_10_8_6_wgs_64_tpt_16_halfLds_dp_ip_CI_unitstride_sbrr_C2R_dirReg
                                        ; -- End function
	.section	.AMDGPU.csdata,"",@progbits
; Kernel info:
; codeLenInByte = 18060
; NumSgprs: 23
; NumVgprs: 254
; ScratchSize: 0
; MemoryBound: 0
; FloatMode: 240
; IeeeMode: 1
; LDSByteSize: 0 bytes/workgroup (compile time only)
; SGPRBlocks: 2
; VGPRBlocks: 31
; NumSGPRsForWavesPerEU: 23
; NumVGPRsForWavesPerEU: 254
; Occupancy: 4
; WaveLimiterHint : 1
; COMPUTE_PGM_RSRC2:SCRATCH_EN: 0
; COMPUTE_PGM_RSRC2:USER_SGPR: 6
; COMPUTE_PGM_RSRC2:TRAP_HANDLER: 0
; COMPUTE_PGM_RSRC2:TGID_X_EN: 1
; COMPUTE_PGM_RSRC2:TGID_Y_EN: 0
; COMPUTE_PGM_RSRC2:TGID_Z_EN: 0
; COMPUTE_PGM_RSRC2:TIDIG_COMP_CNT: 0
	.text
	.p2alignl 6, 3214868480
	.fill 48, 4, 3214868480
	.type	__hip_cuid_c9055a3f21a06ecc,@object ; @__hip_cuid_c9055a3f21a06ecc
	.section	.bss,"aw",@nobits
	.globl	__hip_cuid_c9055a3f21a06ecc
__hip_cuid_c9055a3f21a06ecc:
	.byte	0                               ; 0x0
	.size	__hip_cuid_c9055a3f21a06ecc, 1

	.ident	"AMD clang version 19.0.0git (https://github.com/RadeonOpenCompute/llvm-project roc-6.4.0 25133 c7fe45cf4b819c5991fe208aaa96edf142730f1d)"
	.section	".note.GNU-stack","",@progbits
	.addrsig
	.addrsig_sym __hip_cuid_c9055a3f21a06ecc
	.amdgpu_metadata
---
amdhsa.kernels:
  - .args:
      - .actual_access:  read_only
        .address_space:  global
        .offset:         0
        .size:           8
        .value_kind:     global_buffer
      - .offset:         8
        .size:           8
        .value_kind:     by_value
      - .actual_access:  read_only
        .address_space:  global
        .offset:         16
        .size:           8
        .value_kind:     global_buffer
      - .actual_access:  read_only
        .address_space:  global
        .offset:         24
        .size:           8
        .value_kind:     global_buffer
      - .offset:         32
        .size:           8
        .value_kind:     by_value
      - .actual_access:  read_only
        .address_space:  global
        .offset:         40
        .size:           8
        .value_kind:     global_buffer
      - .actual_access:  read_only
        .address_space:  global
        .offset:         48
        .size:           8
        .value_kind:     global_buffer
      - .offset:         56
        .size:           4
        .value_kind:     by_value
      - .actual_access:  read_only
        .address_space:  global
        .offset:         64
        .size:           8
        .value_kind:     global_buffer
      - .actual_access:  read_only
        .address_space:  global
        .offset:         72
        .size:           8
        .value_kind:     global_buffer
      - .address_space:  global
        .offset:         80
        .size:           8
        .value_kind:     global_buffer
    .group_segment_fixed_size: 0
    .kernarg_segment_align: 8
    .kernarg_segment_size: 88
    .language:       OpenCL C
    .language_version:
      - 2
      - 0
    .max_flat_workgroup_size: 64
    .name:           fft_rtc_back_len480_factors_10_8_6_wgs_64_tpt_16_halfLds_dp_ip_CI_unitstride_sbrr_C2R_dirReg
    .private_segment_fixed_size: 0
    .sgpr_count:     23
    .sgpr_spill_count: 0
    .symbol:         fft_rtc_back_len480_factors_10_8_6_wgs_64_tpt_16_halfLds_dp_ip_CI_unitstride_sbrr_C2R_dirReg.kd
    .uniform_work_group_size: 1
    .uses_dynamic_stack: false
    .vgpr_count:     254
    .vgpr_spill_count: 0
    .wavefront_size: 32
    .workgroup_processor_mode: 1
amdhsa.target:   amdgcn-amd-amdhsa--gfx1030
amdhsa.version:
  - 1
  - 2
...

	.end_amdgpu_metadata
